;; amdgpu-corpus repo=ROCm/rocPRIM kind=compiled arch=gfx90a opt=O3
	.text
	.amdgcn_target "amdgcn-amd-amdhsa--gfx90a"
	.amdhsa_code_object_version 6
	.section	.text._Z30block_run_length_decode_kernelI12hip_bfloat16iLj256ELj9ELj7EEvPKT_PKT0_PS1_PS4_,"axG",@progbits,_Z30block_run_length_decode_kernelI12hip_bfloat16iLj256ELj9ELj7EEvPKT_PKT0_PS1_PS4_,comdat
	.protected	_Z30block_run_length_decode_kernelI12hip_bfloat16iLj256ELj9ELj7EEvPKT_PKT0_PS1_PS4_ ; -- Begin function _Z30block_run_length_decode_kernelI12hip_bfloat16iLj256ELj9ELj7EEvPKT_PKT0_PS1_PS4_
	.globl	_Z30block_run_length_decode_kernelI12hip_bfloat16iLj256ELj9ELj7EEvPKT_PKT0_PS1_PS4_
	.p2align	8
	.type	_Z30block_run_length_decode_kernelI12hip_bfloat16iLj256ELj9ELj7EEvPKT_PKT0_PS1_PS4_,@function
_Z30block_run_length_decode_kernelI12hip_bfloat16iLj256ELj9ELj7EEvPKT_PKT0_PS1_PS4_: ; @_Z30block_run_length_decode_kernelI12hip_bfloat16iLj256ELj9ELj7EEvPKT_PKT0_PS1_PS4_
; %bb.0:
	s_load_dwordx8 s[8:15], s[4:5], 0x0
	v_lshl_or_b32 v14, s6, 8, v0
	v_lshl_add_u32 v2, v14, 3, v14
	v_mov_b32_e32 v3, 0
	v_lshlrev_b64 v[4:5], 2, v[2:3]
	s_waitcnt lgkmcnt(0)
	v_mov_b32_e32 v1, s11
	v_add_co_u32_e32 v4, vcc, s10, v4
	v_addc_co_u32_e32 v5, vcc, v1, v5, vcc
	global_load_dwordx4 v[10:13], v[4:5], off
	global_load_dwordx4 v[6:9], v[4:5], off offset:16
	global_load_dword v18, v[4:5], off offset:32
	v_lshlrev_b64 v[2:3], 1, v[2:3]
	v_mov_b32_e32 v1, s9
	v_add_co_u32_e32 v16, vcc, s8, v2
	v_addc_co_u32_e32 v17, vcc, v1, v3, vcc
	global_load_dwordx4 v[2:5], v[16:17], off
	global_load_ushort v1, v[16:17], off offset:16
	v_mbcnt_lo_u32_b32 v15, -1, 0
	v_mbcnt_hi_u32_b32 v15, -1, v15
	v_and_b32_e32 v17, 15, v15
	v_cmp_ne_u32_e32 vcc, 0, v17
	v_bfe_i32 v20, v15, 4, 1
	v_or_b32_e32 v19, 63, v0
	v_lshrrev_b32_e32 v16, 6, v0
	s_waitcnt vmcnt(4)
	v_add3_u32 v21, v11, v10, v12
	s_waitcnt vmcnt(3)
	v_add3_u32 v21, v21, v13, v6
	v_add3_u32 v21, v21, v7, v8
	s_waitcnt vmcnt(2)
	v_add3_u32 v18, v21, v9, v18
	s_nop 1
	v_mov_b32_dpp v21, v18 row_shr:1 row_mask:0xf bank_mask:0xf
	v_cndmask_b32_e32 v21, 0, v21, vcc
	v_add_u32_e32 v18, v21, v18
	v_cmp_lt_u32_e32 vcc, 1, v17
	s_nop 0
	v_mov_b32_dpp v21, v18 row_shr:2 row_mask:0xf bank_mask:0xf
	v_cndmask_b32_e32 v21, 0, v21, vcc
	v_add_u32_e32 v18, v18, v21
	v_cmp_lt_u32_e32 vcc, 3, v17
	;; [unrolled: 5-line block ×4, first 2 shown]
	s_nop 0
	v_mov_b32_dpp v18, v17 row_bcast:15 row_mask:0xf bank_mask:0xf
	v_and_b32_e32 v18, v20, v18
	v_add_u32_e32 v17, v17, v18
	s_nop 1
	v_mov_b32_dpp v18, v17 row_bcast:31 row_mask:0xf bank_mask:0xf
	v_cndmask_b32_e32 v18, 0, v18, vcc
	v_add_u32_e32 v17, v17, v18
	v_cmp_eq_u32_e32 vcc, v19, v0
	s_and_saveexec_b64 s[0:1], vcc
	s_cbranch_execz .LBB0_2
; %bb.1:
	v_lshlrev_b32_e32 v18, 2, v16
	ds_write_b32 v18, v17
.LBB0_2:
	s_or_b64 exec, exec, s[0:1]
	v_cmp_gt_u32_e32 vcc, 4, v0
	s_waitcnt lgkmcnt(0)
	s_barrier
	s_and_saveexec_b64 s[0:1], vcc
	s_cbranch_execz .LBB0_4
; %bb.3:
	v_lshlrev_b32_e32 v18, 2, v0
	ds_read_b32 v19, v18
	v_and_b32_e32 v20, 3, v15
	v_cmp_ne_u32_e32 vcc, 0, v20
	s_waitcnt lgkmcnt(0)
	v_mov_b32_dpp v21, v19 row_shr:1 row_mask:0xf bank_mask:0xf
	v_cndmask_b32_e32 v21, 0, v21, vcc
	v_add_u32_e32 v19, v21, v19
	v_cmp_lt_u32_e32 vcc, 1, v20
	s_nop 0
	v_mov_b32_dpp v21, v19 row_shr:2 row_mask:0xf bank_mask:0xf
	v_cndmask_b32_e32 v20, 0, v21, vcc
	v_add_u32_e32 v19, v19, v20
	ds_write_b32 v18, v19
.LBB0_4:
	s_or_b64 exec, exec, s[0:1]
	v_cmp_lt_u32_e32 vcc, 63, v0
	v_mov_b32_e32 v18, 0
	v_mov_b32_e32 v19, 0
	s_waitcnt lgkmcnt(0)
	s_barrier
	s_and_saveexec_b64 s[0:1], vcc
	s_cbranch_execz .LBB0_6
; %bb.5:
	v_lshl_add_u32 v16, v16, 2, -4
	ds_read_b32 v19, v16
.LBB0_6:
	s_or_b64 exec, exec, s[0:1]
	s_waitcnt lgkmcnt(0)
	v_add_u32_e32 v16, v19, v17
	v_add_u32_e32 v17, -1, v15
	v_and_b32_e32 v20, 64, v15
	v_cmp_lt_i32_e32 vcc, v17, v20
	v_cndmask_b32_e32 v17, v17, v15, vcc
	v_lshlrev_b32_e32 v17, 2, v17
	ds_bpermute_b32 v16, v17, v16
	v_cmp_eq_u32_e32 vcc, 0, v15
	v_mul_u32_u24_e32 v17, 9, v0
	s_mov_b32 s17, 0
	s_waitcnt lgkmcnt(0)
	v_cndmask_b32_e32 v15, v16, v19, vcc
	v_cmp_ne_u32_e32 vcc, 0, v0
	v_cndmask_b32_e32 v15, 0, v15, vcc
	v_add_u32_e32 v10, v15, v10
	ds_read_b32 v16, v18 offset:12
	v_add_u32_e32 v11, v10, v11
	v_add_u32_e32 v12, v11, v12
	;; [unrolled: 1-line block ×3, first 2 shown]
	v_lshlrev_b32_e32 v18, 1, v17
	v_lshlrev_b32_e32 v17, 2, v17
	v_add_u32_e32 v6, v13, v6
	v_add_u32_e32 v19, 0x1200, v17
	;; [unrolled: 1-line block ×3, first 2 shown]
	s_waitcnt lgkmcnt(0)
	s_barrier
	ds_write2_b32 v19, v15, v10 offset1:1
	ds_write_b32 v17, v11 offset:4616
	s_waitcnt vmcnt(1)
	ds_write_b64 v18, v[2:3]
	v_add_u32_e32 v2, 0x120c, v17
	v_cmp_eq_u32_e32 vcc, 0, v16
	v_add_u32_e32 v8, v7, v8
	v_readfirstlane_b32 s18, v16
	ds_write2_b32 v2, v12, v13 offset1:1
	v_add_u32_e32 v2, 0x1214, v17
	s_and_b64 vcc, exec, vcc
	v_add_u32_e32 v9, v8, v9
	ds_write2_b32 v2, v6, v7 offset1:1
	ds_write_b64 v18, v[4:5] offset:8
	ds_write_b32 v17, v8 offset:4636
	s_waitcnt vmcnt(0)
	ds_write_b16 v18, v1 offset:16
	ds_write_b32 v17, v9 offset:4640
	s_waitcnt lgkmcnt(0)
	s_barrier
	s_cbranch_vccnz .LBB0_49
; %bb.7:
	v_mul_u32_u24_e32 v4, 7, v0
	v_mov_b32_e32 v1, 0
	v_mul_lo_u32 v0, v14, 7
	ds_read_b32 v5, v1 offset:9216
	v_lshlrev_b64 v[2:3], 1, v[0:1]
	v_mov_b32_e32 v7, s13
	v_add_co_u32_e32 v6, vcc, s12, v2
	v_addc_co_u32_e32 v7, vcc, v7, v3, vcc
	v_lshlrev_b64 v[2:3], 2, v[0:1]
	v_mov_b32_e32 v14, s15
	v_add_co_u32_e32 v1, vcc, s14, v2
	v_add_u32_e32 v8, 1, v0
	v_add_u32_e32 v9, 2, v0
	;; [unrolled: 1-line block ×6, first 2 shown]
	v_addc_co_u32_e32 v14, vcc, v14, v3, vcc
	v_mov_b32_e32 v15, 0x481
	v_mov_b32_e32 v16, 0x900
	;; [unrolled: 1-line block ×6, first 2 shown]
	s_mov_b32 s14, s18
	s_mov_b32 s16, s17
	s_branch .LBB0_9
.LBB0_8:                                ;   in Loop: Header=BB0_9 Depth=1
	s_or_b64 exec, exec, s[0:1]
	s_addk_i32 s16, 0x700
	s_addk_i32 s14, 0xf900
	s_cmp_lt_u32 s16, s18
	s_cbranch_scc0 .LBB0_49
.LBB0_9:                                ; =>This Inner Loop Header: Depth=1
	v_add_u32_e32 v21, s16, v4
	s_waitcnt lgkmcnt(0)
	v_cmp_gt_u32_e32 vcc, v5, v21
	v_cndmask_b32_e32 v3, v18, v19, vcc
	v_lshlrev_b32_e32 v22, 2, v3
	ds_read_b32 v22, v22 offset:4608
	v_cndmask_b32_e64 v2, v15, 0, vcc
	v_cndmask_b32_e32 v23, v16, v17, vcc
	v_or_b32_e32 v24, 1, v3
	s_waitcnt lgkmcnt(0)
	v_cmp_gt_u32_e32 vcc, v22, v21
	v_cndmask_b32_e32 v2, v24, v2, vcc
	v_cndmask_b32_e32 v3, v23, v3, vcc
	v_sub_u32_e32 v22, v3, v2
	v_lshrrev_b16_e32 v23, 15, v22
	v_add_u16_e32 v22, v22, v23
	v_ashrrev_i16_e32 v22, 1, v22
	v_add_u32_sdwa v22, v2, sext(v22) dst_sel:DWORD dst_unused:UNUSED_PAD src0_sel:DWORD src1_sel:WORD_0
	v_min_i32_e32 v22, 0x8ff, v22
	v_lshlrev_b32_e32 v23, 2, v22
	ds_read_b32 v23, v23 offset:4608
	v_add_u32_e32 v24, 1, v22
	s_waitcnt lgkmcnt(0)
	v_cmp_gt_u32_e32 vcc, v23, v21
	v_cndmask_b32_e32 v2, v24, v2, vcc
	v_cndmask_b32_e32 v3, v3, v22, vcc
	v_sub_u32_e32 v22, v3, v2
	v_lshrrev_b16_e32 v23, 15, v22
	v_add_u16_e32 v22, v22, v23
	v_ashrrev_i16_e32 v22, 1, v22
	v_add_u32_sdwa v22, v2, sext(v22) dst_sel:DWORD dst_unused:UNUSED_PAD src0_sel:DWORD src1_sel:WORD_0
	v_min_i32_e32 v22, 0x8ff, v22
	v_lshlrev_b32_e32 v23, 2, v22
	ds_read_b32 v23, v23 offset:4608
	v_add_u32_e32 v24, 1, v22
	;; [unrolled: 13-line block ×7, first 2 shown]
	s_waitcnt lgkmcnt(0)
	v_cmp_gt_u32_e32 vcc, v23, v21
	v_cndmask_b32_e32 v2, v24, v2, vcc
	v_cndmask_b32_e32 v3, v3, v22, vcc
	v_sub_u32_e32 v22, v3, v2
	v_lshrrev_b32_e32 v23, 31, v22
	v_add_u32_e32 v22, v22, v23
	v_ashrrev_i32_e32 v22, 1, v22
	v_add_u32_e32 v22, v22, v2
	v_min_i32_e32 v22, 0x8ff, v22
	v_lshlrev_b32_e32 v23, 2, v22
	ds_read_b32 v23, v23 offset:4608
	v_add_u32_e32 v24, 1, v22
	s_waitcnt lgkmcnt(0)
	v_cmp_gt_u32_e32 vcc, v23, v21
	v_cndmask_b32_e32 v2, v24, v2, vcc
	v_cndmask_b32_e32 v3, v3, v22, vcc
	v_sub_u32_e32 v22, v3, v2
	v_lshrrev_b32_e32 v23, 31, v22
	v_add_u32_e32 v22, v22, v23
	v_ashrrev_i32_e32 v22, 1, v22
	v_add_u32_e32 v22, v22, v2
	v_min_i32_e32 v22, 0x8ff, v22
	v_lshlrev_b32_e32 v23, 2, v22
	ds_read_b32 v23, v23 offset:4608
	v_add_u32_e32 v24, 1, v22
	;; [unrolled: 13-line block ×4, first 2 shown]
	v_add_u32_e32 v23, 1, v21
	s_waitcnt lgkmcnt(0)
	v_cmp_gt_u32_e32 vcc, v22, v21
	v_cndmask_b32_e32 v30, v3, v2, vcc
	v_lshlrev_b32_e32 v24, 2, v30
	v_add_u32_e32 v2, 0x11fc, v24
	ds_read2_b32 v[2:3], v2 offset1:1
	v_lshl_add_u32 v22, v30, 1, -2
	ds_read_u16 v27, v22
	s_waitcnt lgkmcnt(1)
	v_sub_u32_e32 v22, v21, v2
	v_cmp_eq_u32_e32 vcc, v23, v3
	v_mov_b32_e32 v23, v22
	s_waitcnt lgkmcnt(0)
	v_mov_b32_e32 v28, v27
	s_and_saveexec_b64 s[0:1], vcc
	s_cbranch_execz .LBB0_11
; %bb.10:                               ;   in Loop: Header=BB0_9 Depth=1
	v_lshlrev_b32_e32 v2, 1, v30
	ds_read_b32 v24, v24 offset:4612
	ds_read_u16 v28, v2
	v_add_u32_e32 v30, 1, v30
	v_sub_u32_e32 v23, v21, v3
	s_waitcnt lgkmcnt(1)
	v_mov_b32_e32 v3, v24
.LBB0_11:                               ;   in Loop: Header=BB0_9 Depth=1
	s_or_b64 exec, exec, s[0:1]
	v_add_u32_e32 v2, 2, v21
	v_cmp_eq_u32_e32 vcc, v2, v3
	v_mov_b32_e32 v24, v23
	s_waitcnt lgkmcnt(0)
	v_mov_b32_e32 v31, v28
	s_and_saveexec_b64 s[0:1], vcc
	s_cbranch_execz .LBB0_13
; %bb.12:                               ;   in Loop: Header=BB0_9 Depth=1
	v_lshlrev_b32_e32 v2, 1, v30
	v_add_u32_e32 v30, 1, v30
	v_lshlrev_b32_e32 v24, 2, v30
	ds_read_b32 v25, v24 offset:4608
	ds_read_u16 v31, v2
	v_sub_u32_e32 v24, v21, v3
	s_waitcnt lgkmcnt(1)
	v_mov_b32_e32 v3, v25
.LBB0_13:                               ;   in Loop: Header=BB0_9 Depth=1
	s_or_b64 exec, exec, s[0:1]
	v_add_u32_e32 v2, 3, v21
	v_cmp_eq_u32_e32 vcc, v2, v3
	v_mov_b32_e32 v25, v24
	s_waitcnt lgkmcnt(0)
	v_mov_b32_e32 v33, v31
	s_and_saveexec_b64 s[0:1], vcc
	s_cbranch_execz .LBB0_15
; %bb.14:                               ;   in Loop: Header=BB0_9 Depth=1
	v_lshl_add_u32 v2, v30, 2, v20
	v_lshlrev_b32_e32 v25, 1, v30
	ds_read2_b32 v[2:3], v2 offset1:1
	ds_read_u16 v33, v25
	v_add_u32_e32 v30, 1, v30
	s_waitcnt lgkmcnt(1)
	v_sub_u32_e32 v25, v21, v2
.LBB0_15:                               ;   in Loop: Header=BB0_9 Depth=1
	s_or_b64 exec, exec, s[0:1]
	v_add_u32_e32 v2, 4, v21
	v_cmp_eq_u32_e32 vcc, v2, v3
	v_mov_b32_e32 v26, v25
	s_waitcnt lgkmcnt(0)
	v_mov_b32_e32 v34, v33
	s_and_saveexec_b64 s[0:1], vcc
	s_cbranch_execz .LBB0_17
; %bb.16:                               ;   in Loop: Header=BB0_9 Depth=1
	v_lshl_add_u32 v2, v30, 2, v20
	v_lshlrev_b32_e32 v26, 1, v30
	ds_read2_b32 v[2:3], v2 offset1:1
	ds_read_u16 v34, v26
	v_add_u32_e32 v30, 1, v30
	s_waitcnt lgkmcnt(1)
	v_sub_u32_e32 v26, v21, v2
.LBB0_17:                               ;   in Loop: Header=BB0_9 Depth=1
	;; [unrolled: 17-line block ×3, first 2 shown]
	s_or_b64 exec, exec, s[0:1]
	v_add_u32_e32 v2, 6, v21
	v_cmp_eq_u32_e32 vcc, v2, v3
	v_mov_b32_e32 v32, v29
	s_waitcnt lgkmcnt(0)
	v_mov_b32_e32 v36, v35
	s_and_saveexec_b64 s[0:1], vcc
	s_cbranch_execz .LBB0_21
; %bb.20:                               ;   in Loop: Header=BB0_9 Depth=1
	v_lshlrev_b32_e32 v3, 2, v30
	v_lshlrev_b32_e32 v2, 1, v30
	ds_read_b32 v3, v3 offset:4608
	ds_read_u16 v36, v2
	s_waitcnt lgkmcnt(1)
	v_sub_u32_e32 v32, v21, v3
.LBB0_21:                               ;   in Loop: Header=BB0_9 Depth=1
	s_or_b64 exec, exec, s[0:1]
	s_lshl_b64 s[0:1], s[16:17], 1
	v_mov_b32_e32 v3, s1
	v_add_co_u32_e32 v2, vcc, s0, v6
	s_min_u32 s12, s14, 0x700
	v_addc_co_u32_e32 v3, vcc, v7, v3, vcc
	v_cmp_gt_u32_e32 vcc, s12, v0
	s_and_saveexec_b64 s[0:1], vcc
	s_cbranch_execnz .LBB0_36
; %bb.22:                               ;   in Loop: Header=BB0_9 Depth=1
	s_or_b64 exec, exec, s[0:1]
	v_cmp_gt_u32_e64 s[0:1], s12, v8
	s_and_saveexec_b64 s[2:3], s[0:1]
	s_cbranch_execnz .LBB0_37
.LBB0_23:                               ;   in Loop: Header=BB0_9 Depth=1
	s_or_b64 exec, exec, s[2:3]
	v_cmp_gt_u32_e64 s[2:3], s12, v9
	s_and_saveexec_b64 s[4:5], s[2:3]
	s_cbranch_execnz .LBB0_38
.LBB0_24:                               ;   in Loop: Header=BB0_9 Depth=1
	s_or_b64 exec, exec, s[4:5]
	v_cmp_gt_u32_e64 s[4:5], s12, v10
	s_and_saveexec_b64 s[6:7], s[4:5]
	s_cbranch_execnz .LBB0_39
.LBB0_25:                               ;   in Loop: Header=BB0_9 Depth=1
	s_or_b64 exec, exec, s[6:7]
	v_cmp_gt_u32_e64 s[6:7], s12, v11
	s_and_saveexec_b64 s[8:9], s[6:7]
	s_cbranch_execnz .LBB0_40
.LBB0_26:                               ;   in Loop: Header=BB0_9 Depth=1
	s_or_b64 exec, exec, s[8:9]
	v_cmp_gt_u32_e64 s[8:9], s12, v12
	s_and_saveexec_b64 s[10:11], s[8:9]
	s_cbranch_execnz .LBB0_41
.LBB0_27:                               ;   in Loop: Header=BB0_9 Depth=1
	s_or_b64 exec, exec, s[10:11]
	v_cmp_gt_u32_e64 s[10:11], s12, v13
	s_and_saveexec_b64 s[12:13], s[10:11]
	s_cbranch_execz .LBB0_29
.LBB0_28:                               ;   in Loop: Header=BB0_9 Depth=1
	s_waitcnt lgkmcnt(0)
	global_store_short v[2:3], v36, off offset:12
.LBB0_29:                               ;   in Loop: Header=BB0_9 Depth=1
	s_or_b64 exec, exec, s[12:13]
	s_lshl_b64 s[12:13], s[16:17], 2
	v_mov_b32_e32 v3, s13
	v_add_co_u32_e64 v2, s[12:13], s12, v1
	v_addc_co_u32_e64 v3, s[12:13], v14, v3, s[12:13]
	s_and_saveexec_b64 s[12:13], vcc
	s_cbranch_execnz .LBB0_42
; %bb.30:                               ;   in Loop: Header=BB0_9 Depth=1
	s_or_b64 exec, exec, s[12:13]
	s_and_saveexec_b64 s[12:13], s[0:1]
	s_cbranch_execnz .LBB0_43
.LBB0_31:                               ;   in Loop: Header=BB0_9 Depth=1
	s_or_b64 exec, exec, s[12:13]
	s_and_saveexec_b64 s[0:1], s[2:3]
	s_cbranch_execnz .LBB0_44
.LBB0_32:                               ;   in Loop: Header=BB0_9 Depth=1
	s_or_b64 exec, exec, s[0:1]
	s_and_saveexec_b64 s[0:1], s[4:5]
	s_cbranch_execnz .LBB0_45
.LBB0_33:                               ;   in Loop: Header=BB0_9 Depth=1
	s_or_b64 exec, exec, s[0:1]
	s_and_saveexec_b64 s[0:1], s[6:7]
	s_cbranch_execnz .LBB0_46
.LBB0_34:                               ;   in Loop: Header=BB0_9 Depth=1
	s_or_b64 exec, exec, s[0:1]
	s_and_saveexec_b64 s[0:1], s[8:9]
	s_cbranch_execnz .LBB0_47
.LBB0_35:                               ;   in Loop: Header=BB0_9 Depth=1
	s_or_b64 exec, exec, s[0:1]
	s_and_saveexec_b64 s[0:1], s[10:11]
	s_cbranch_execz .LBB0_8
	s_branch .LBB0_48
.LBB0_36:                               ;   in Loop: Header=BB0_9 Depth=1
	global_store_short v[2:3], v27, off
	s_or_b64 exec, exec, s[0:1]
	v_cmp_gt_u32_e64 s[0:1], s12, v8
	s_and_saveexec_b64 s[2:3], s[0:1]
	s_cbranch_execz .LBB0_23
.LBB0_37:                               ;   in Loop: Header=BB0_9 Depth=1
	global_store_short v[2:3], v28, off offset:2
	s_or_b64 exec, exec, s[2:3]
	v_cmp_gt_u32_e64 s[2:3], s12, v9
	s_and_saveexec_b64 s[4:5], s[2:3]
	s_cbranch_execz .LBB0_24
.LBB0_38:                               ;   in Loop: Header=BB0_9 Depth=1
	global_store_short v[2:3], v31, off offset:4
	s_or_b64 exec, exec, s[4:5]
	v_cmp_gt_u32_e64 s[4:5], s12, v10
	s_and_saveexec_b64 s[6:7], s[4:5]
	s_cbranch_execz .LBB0_25
.LBB0_39:                               ;   in Loop: Header=BB0_9 Depth=1
	global_store_short v[2:3], v33, off offset:6
	s_or_b64 exec, exec, s[6:7]
	v_cmp_gt_u32_e64 s[6:7], s12, v11
	s_and_saveexec_b64 s[8:9], s[6:7]
	s_cbranch_execz .LBB0_26
.LBB0_40:                               ;   in Loop: Header=BB0_9 Depth=1
	global_store_short v[2:3], v34, off offset:8
	s_or_b64 exec, exec, s[8:9]
	v_cmp_gt_u32_e64 s[8:9], s12, v12
	s_and_saveexec_b64 s[10:11], s[8:9]
	s_cbranch_execz .LBB0_27
.LBB0_41:                               ;   in Loop: Header=BB0_9 Depth=1
	global_store_short v[2:3], v35, off offset:10
	s_or_b64 exec, exec, s[10:11]
	v_cmp_gt_u32_e64 s[10:11], s12, v13
	s_and_saveexec_b64 s[12:13], s[10:11]
	s_cbranch_execnz .LBB0_28
	s_branch .LBB0_29
.LBB0_42:                               ;   in Loop: Header=BB0_9 Depth=1
	global_store_dword v[2:3], v22, off
	s_or_b64 exec, exec, s[12:13]
	s_and_saveexec_b64 s[12:13], s[0:1]
	s_cbranch_execz .LBB0_31
.LBB0_43:                               ;   in Loop: Header=BB0_9 Depth=1
	v_add_u32_e32 v21, 1, v23
	global_store_dword v[2:3], v21, off offset:4
	s_or_b64 exec, exec, s[12:13]
	s_and_saveexec_b64 s[0:1], s[2:3]
	s_cbranch_execz .LBB0_32
.LBB0_44:                               ;   in Loop: Header=BB0_9 Depth=1
	v_add_u32_e32 v21, 2, v24
	global_store_dword v[2:3], v21, off offset:8
	s_or_b64 exec, exec, s[0:1]
	s_and_saveexec_b64 s[0:1], s[4:5]
	s_cbranch_execz .LBB0_33
.LBB0_45:                               ;   in Loop: Header=BB0_9 Depth=1
	v_add_u32_e32 v21, 3, v25
	global_store_dword v[2:3], v21, off offset:12
	s_or_b64 exec, exec, s[0:1]
	s_and_saveexec_b64 s[0:1], s[6:7]
	s_cbranch_execz .LBB0_34
.LBB0_46:                               ;   in Loop: Header=BB0_9 Depth=1
	v_add_u32_e32 v21, 4, v26
	global_store_dword v[2:3], v21, off offset:16
	s_or_b64 exec, exec, s[0:1]
	s_and_saveexec_b64 s[0:1], s[8:9]
	s_cbranch_execz .LBB0_35
.LBB0_47:                               ;   in Loop: Header=BB0_9 Depth=1
	v_add_u32_e32 v21, 5, v29
	global_store_dword v[2:3], v21, off offset:20
	s_or_b64 exec, exec, s[0:1]
	s_and_saveexec_b64 s[0:1], s[10:11]
	s_cbranch_execz .LBB0_8
.LBB0_48:                               ;   in Loop: Header=BB0_9 Depth=1
	v_add_u32_e32 v21, 6, v32
	global_store_dword v[2:3], v21, off offset:24
	s_branch .LBB0_8
.LBB0_49:
	s_endpgm
	.section	.rodata,"a",@progbits
	.p2align	6, 0x0
	.amdhsa_kernel _Z30block_run_length_decode_kernelI12hip_bfloat16iLj256ELj9ELj7EEvPKT_PKT0_PS1_PS4_
		.amdhsa_group_segment_fixed_size 13824
		.amdhsa_private_segment_fixed_size 0
		.amdhsa_kernarg_size 32
		.amdhsa_user_sgpr_count 6
		.amdhsa_user_sgpr_private_segment_buffer 1
		.amdhsa_user_sgpr_dispatch_ptr 0
		.amdhsa_user_sgpr_queue_ptr 0
		.amdhsa_user_sgpr_kernarg_segment_ptr 1
		.amdhsa_user_sgpr_dispatch_id 0
		.amdhsa_user_sgpr_flat_scratch_init 0
		.amdhsa_user_sgpr_kernarg_preload_length 0
		.amdhsa_user_sgpr_kernarg_preload_offset 0
		.amdhsa_user_sgpr_private_segment_size 0
		.amdhsa_uses_dynamic_stack 0
		.amdhsa_system_sgpr_private_segment_wavefront_offset 0
		.amdhsa_system_sgpr_workgroup_id_x 1
		.amdhsa_system_sgpr_workgroup_id_y 0
		.amdhsa_system_sgpr_workgroup_id_z 0
		.amdhsa_system_sgpr_workgroup_info 0
		.amdhsa_system_vgpr_workitem_id 0
		.amdhsa_next_free_vgpr 37
		.amdhsa_next_free_sgpr 19
		.amdhsa_accum_offset 40
		.amdhsa_reserve_vcc 1
		.amdhsa_reserve_flat_scratch 0
		.amdhsa_float_round_mode_32 0
		.amdhsa_float_round_mode_16_64 0
		.amdhsa_float_denorm_mode_32 3
		.amdhsa_float_denorm_mode_16_64 3
		.amdhsa_dx10_clamp 1
		.amdhsa_ieee_mode 1
		.amdhsa_fp16_overflow 0
		.amdhsa_tg_split 0
		.amdhsa_exception_fp_ieee_invalid_op 0
		.amdhsa_exception_fp_denorm_src 0
		.amdhsa_exception_fp_ieee_div_zero 0
		.amdhsa_exception_fp_ieee_overflow 0
		.amdhsa_exception_fp_ieee_underflow 0
		.amdhsa_exception_fp_ieee_inexact 0
		.amdhsa_exception_int_div_zero 0
	.end_amdhsa_kernel
	.section	.text._Z30block_run_length_decode_kernelI12hip_bfloat16iLj256ELj9ELj7EEvPKT_PKT0_PS1_PS4_,"axG",@progbits,_Z30block_run_length_decode_kernelI12hip_bfloat16iLj256ELj9ELj7EEvPKT_PKT0_PS1_PS4_,comdat
.Lfunc_end0:
	.size	_Z30block_run_length_decode_kernelI12hip_bfloat16iLj256ELj9ELj7EEvPKT_PKT0_PS1_PS4_, .Lfunc_end0-_Z30block_run_length_decode_kernelI12hip_bfloat16iLj256ELj9ELj7EEvPKT_PKT0_PS1_PS4_
                                        ; -- End function
	.section	.AMDGPU.csdata,"",@progbits
; Kernel info:
; codeLenInByte = 2740
; NumSgprs: 23
; NumVgprs: 37
; NumAgprs: 0
; TotalNumVgprs: 37
; ScratchSize: 0
; MemoryBound: 0
; FloatMode: 240
; IeeeMode: 1
; LDSByteSize: 13824 bytes/workgroup (compile time only)
; SGPRBlocks: 2
; VGPRBlocks: 4
; NumSGPRsForWavesPerEU: 23
; NumVGPRsForWavesPerEU: 37
; AccumOffset: 40
; Occupancy: 4
; WaveLimiterHint : 0
; COMPUTE_PGM_RSRC2:SCRATCH_EN: 0
; COMPUTE_PGM_RSRC2:USER_SGPR: 6
; COMPUTE_PGM_RSRC2:TRAP_HANDLER: 0
; COMPUTE_PGM_RSRC2:TGID_X_EN: 1
; COMPUTE_PGM_RSRC2:TGID_Y_EN: 0
; COMPUTE_PGM_RSRC2:TGID_Z_EN: 0
; COMPUTE_PGM_RSRC2:TIDIG_COMP_CNT: 0
; COMPUTE_PGM_RSRC3_GFX90A:ACCUM_OFFSET: 9
; COMPUTE_PGM_RSRC3_GFX90A:TG_SPLIT: 0
	.section	.text._Z30block_run_length_decode_kernelI6__halfiLj256ELj9ELj7EEvPKT_PKT0_PS1_PS4_,"axG",@progbits,_Z30block_run_length_decode_kernelI6__halfiLj256ELj9ELj7EEvPKT_PKT0_PS1_PS4_,comdat
	.protected	_Z30block_run_length_decode_kernelI6__halfiLj256ELj9ELj7EEvPKT_PKT0_PS1_PS4_ ; -- Begin function _Z30block_run_length_decode_kernelI6__halfiLj256ELj9ELj7EEvPKT_PKT0_PS1_PS4_
	.globl	_Z30block_run_length_decode_kernelI6__halfiLj256ELj9ELj7EEvPKT_PKT0_PS1_PS4_
	.p2align	8
	.type	_Z30block_run_length_decode_kernelI6__halfiLj256ELj9ELj7EEvPKT_PKT0_PS1_PS4_,@function
_Z30block_run_length_decode_kernelI6__halfiLj256ELj9ELj7EEvPKT_PKT0_PS1_PS4_: ; @_Z30block_run_length_decode_kernelI6__halfiLj256ELj9ELj7EEvPKT_PKT0_PS1_PS4_
; %bb.0:
	s_load_dwordx8 s[8:15], s[4:5], 0x0
	v_lshl_or_b32 v14, s6, 8, v0
	v_lshl_add_u32 v2, v14, 3, v14
	v_mov_b32_e32 v3, 0
	v_lshlrev_b64 v[4:5], 2, v[2:3]
	s_waitcnt lgkmcnt(0)
	v_mov_b32_e32 v1, s11
	v_add_co_u32_e32 v4, vcc, s10, v4
	v_addc_co_u32_e32 v5, vcc, v1, v5, vcc
	global_load_dwordx4 v[10:13], v[4:5], off
	global_load_dwordx4 v[6:9], v[4:5], off offset:16
	global_load_dword v18, v[4:5], off offset:32
	v_lshlrev_b64 v[2:3], 1, v[2:3]
	v_mov_b32_e32 v1, s9
	v_add_co_u32_e32 v16, vcc, s8, v2
	v_addc_co_u32_e32 v17, vcc, v1, v3, vcc
	global_load_dwordx4 v[2:5], v[16:17], off
	global_load_ushort v1, v[16:17], off offset:16
	v_mbcnt_lo_u32_b32 v15, -1, 0
	v_mbcnt_hi_u32_b32 v15, -1, v15
	v_and_b32_e32 v17, 15, v15
	v_cmp_ne_u32_e32 vcc, 0, v17
	v_bfe_i32 v20, v15, 4, 1
	v_or_b32_e32 v19, 63, v0
	v_lshrrev_b32_e32 v16, 6, v0
	s_waitcnt vmcnt(4)
	v_add3_u32 v21, v11, v10, v12
	s_waitcnt vmcnt(3)
	v_add3_u32 v21, v21, v13, v6
	v_add3_u32 v21, v21, v7, v8
	s_waitcnt vmcnt(2)
	v_add3_u32 v18, v21, v9, v18
	s_nop 1
	v_mov_b32_dpp v21, v18 row_shr:1 row_mask:0xf bank_mask:0xf
	v_cndmask_b32_e32 v21, 0, v21, vcc
	v_add_u32_e32 v18, v21, v18
	v_cmp_lt_u32_e32 vcc, 1, v17
	s_nop 0
	v_mov_b32_dpp v21, v18 row_shr:2 row_mask:0xf bank_mask:0xf
	v_cndmask_b32_e32 v21, 0, v21, vcc
	v_add_u32_e32 v18, v18, v21
	v_cmp_lt_u32_e32 vcc, 3, v17
	;; [unrolled: 5-line block ×4, first 2 shown]
	s_nop 0
	v_mov_b32_dpp v18, v17 row_bcast:15 row_mask:0xf bank_mask:0xf
	v_and_b32_e32 v18, v20, v18
	v_add_u32_e32 v17, v17, v18
	s_nop 1
	v_mov_b32_dpp v18, v17 row_bcast:31 row_mask:0xf bank_mask:0xf
	v_cndmask_b32_e32 v18, 0, v18, vcc
	v_add_u32_e32 v17, v17, v18
	v_cmp_eq_u32_e32 vcc, v19, v0
	s_and_saveexec_b64 s[0:1], vcc
	s_cbranch_execz .LBB1_2
; %bb.1:
	v_lshlrev_b32_e32 v18, 2, v16
	ds_write_b32 v18, v17
.LBB1_2:
	s_or_b64 exec, exec, s[0:1]
	v_cmp_gt_u32_e32 vcc, 4, v0
	s_waitcnt lgkmcnt(0)
	s_barrier
	s_and_saveexec_b64 s[0:1], vcc
	s_cbranch_execz .LBB1_4
; %bb.3:
	v_lshlrev_b32_e32 v18, 2, v0
	ds_read_b32 v19, v18
	v_and_b32_e32 v20, 3, v15
	v_cmp_ne_u32_e32 vcc, 0, v20
	s_waitcnt lgkmcnt(0)
	v_mov_b32_dpp v21, v19 row_shr:1 row_mask:0xf bank_mask:0xf
	v_cndmask_b32_e32 v21, 0, v21, vcc
	v_add_u32_e32 v19, v21, v19
	v_cmp_lt_u32_e32 vcc, 1, v20
	s_nop 0
	v_mov_b32_dpp v21, v19 row_shr:2 row_mask:0xf bank_mask:0xf
	v_cndmask_b32_e32 v20, 0, v21, vcc
	v_add_u32_e32 v19, v19, v20
	ds_write_b32 v18, v19
.LBB1_4:
	s_or_b64 exec, exec, s[0:1]
	v_cmp_lt_u32_e32 vcc, 63, v0
	v_mov_b32_e32 v18, 0
	v_mov_b32_e32 v19, 0
	s_waitcnt lgkmcnt(0)
	s_barrier
	s_and_saveexec_b64 s[0:1], vcc
	s_cbranch_execz .LBB1_6
; %bb.5:
	v_lshl_add_u32 v16, v16, 2, -4
	ds_read_b32 v19, v16
.LBB1_6:
	s_or_b64 exec, exec, s[0:1]
	s_waitcnt lgkmcnt(0)
	v_add_u32_e32 v16, v19, v17
	v_add_u32_e32 v17, -1, v15
	v_and_b32_e32 v20, 64, v15
	v_cmp_lt_i32_e32 vcc, v17, v20
	v_cndmask_b32_e32 v17, v17, v15, vcc
	v_lshlrev_b32_e32 v17, 2, v17
	ds_bpermute_b32 v16, v17, v16
	v_cmp_eq_u32_e32 vcc, 0, v15
	v_mul_u32_u24_e32 v17, 9, v0
	s_mov_b32 s17, 0
	s_waitcnt lgkmcnt(0)
	v_cndmask_b32_e32 v15, v16, v19, vcc
	v_cmp_ne_u32_e32 vcc, 0, v0
	v_cndmask_b32_e32 v15, 0, v15, vcc
	v_add_u32_e32 v10, v15, v10
	ds_read_b32 v16, v18 offset:12
	v_add_u32_e32 v11, v10, v11
	v_add_u32_e32 v12, v11, v12
	;; [unrolled: 1-line block ×3, first 2 shown]
	v_lshlrev_b32_e32 v18, 1, v17
	v_lshlrev_b32_e32 v17, 2, v17
	v_add_u32_e32 v6, v13, v6
	v_add_u32_e32 v19, 0x1200, v17
	v_add_u32_e32 v7, v6, v7
	s_waitcnt lgkmcnt(0)
	s_barrier
	ds_write2_b32 v19, v15, v10 offset1:1
	ds_write_b32 v17, v11 offset:4616
	s_waitcnt vmcnt(1)
	ds_write_b64 v18, v[2:3]
	v_add_u32_e32 v2, 0x120c, v17
	v_cmp_eq_u32_e32 vcc, 0, v16
	v_add_u32_e32 v8, v7, v8
	v_readfirstlane_b32 s18, v16
	ds_write2_b32 v2, v12, v13 offset1:1
	v_add_u32_e32 v2, 0x1214, v17
	s_and_b64 vcc, exec, vcc
	v_add_u32_e32 v9, v8, v9
	ds_write2_b32 v2, v6, v7 offset1:1
	ds_write_b64 v18, v[4:5] offset:8
	ds_write_b32 v17, v8 offset:4636
	s_waitcnt vmcnt(0)
	ds_write_b16 v18, v1 offset:16
	ds_write_b32 v17, v9 offset:4640
	s_waitcnt lgkmcnt(0)
	s_barrier
	s_cbranch_vccnz .LBB1_49
; %bb.7:
	v_mul_u32_u24_e32 v4, 7, v0
	v_mov_b32_e32 v1, 0
	v_mul_lo_u32 v0, v14, 7
	ds_read_b32 v5, v1 offset:9216
	v_lshlrev_b64 v[2:3], 1, v[0:1]
	v_mov_b32_e32 v7, s13
	v_add_co_u32_e32 v6, vcc, s12, v2
	v_addc_co_u32_e32 v7, vcc, v7, v3, vcc
	v_lshlrev_b64 v[2:3], 2, v[0:1]
	v_mov_b32_e32 v14, s15
	v_add_co_u32_e32 v1, vcc, s14, v2
	v_add_u32_e32 v8, 1, v0
	v_add_u32_e32 v9, 2, v0
	;; [unrolled: 1-line block ×6, first 2 shown]
	v_addc_co_u32_e32 v14, vcc, v14, v3, vcc
	v_mov_b32_e32 v15, 0x481
	v_mov_b32_e32 v16, 0x900
	;; [unrolled: 1-line block ×6, first 2 shown]
	s_mov_b32 s14, s18
	s_mov_b32 s16, s17
	s_branch .LBB1_9
.LBB1_8:                                ;   in Loop: Header=BB1_9 Depth=1
	s_or_b64 exec, exec, s[0:1]
	s_addk_i32 s16, 0x700
	s_addk_i32 s14, 0xf900
	s_cmp_lt_u32 s16, s18
	s_cbranch_scc0 .LBB1_49
.LBB1_9:                                ; =>This Inner Loop Header: Depth=1
	v_add_u32_e32 v21, s16, v4
	s_waitcnt lgkmcnt(0)
	v_cmp_gt_u32_e32 vcc, v5, v21
	v_cndmask_b32_e32 v3, v18, v19, vcc
	v_lshlrev_b32_e32 v22, 2, v3
	ds_read_b32 v22, v22 offset:4608
	v_cndmask_b32_e64 v2, v15, 0, vcc
	v_cndmask_b32_e32 v23, v16, v17, vcc
	v_or_b32_e32 v24, 1, v3
	s_waitcnt lgkmcnt(0)
	v_cmp_gt_u32_e32 vcc, v22, v21
	v_cndmask_b32_e32 v2, v24, v2, vcc
	v_cndmask_b32_e32 v3, v23, v3, vcc
	v_sub_u32_e32 v22, v3, v2
	v_lshrrev_b16_e32 v23, 15, v22
	v_add_u16_e32 v22, v22, v23
	v_ashrrev_i16_e32 v22, 1, v22
	v_add_u32_sdwa v22, v2, sext(v22) dst_sel:DWORD dst_unused:UNUSED_PAD src0_sel:DWORD src1_sel:WORD_0
	v_min_i32_e32 v22, 0x8ff, v22
	v_lshlrev_b32_e32 v23, 2, v22
	ds_read_b32 v23, v23 offset:4608
	v_add_u32_e32 v24, 1, v22
	s_waitcnt lgkmcnt(0)
	v_cmp_gt_u32_e32 vcc, v23, v21
	v_cndmask_b32_e32 v2, v24, v2, vcc
	v_cndmask_b32_e32 v3, v3, v22, vcc
	v_sub_u32_e32 v22, v3, v2
	v_lshrrev_b16_e32 v23, 15, v22
	v_add_u16_e32 v22, v22, v23
	v_ashrrev_i16_e32 v22, 1, v22
	v_add_u32_sdwa v22, v2, sext(v22) dst_sel:DWORD dst_unused:UNUSED_PAD src0_sel:DWORD src1_sel:WORD_0
	v_min_i32_e32 v22, 0x8ff, v22
	v_lshlrev_b32_e32 v23, 2, v22
	ds_read_b32 v23, v23 offset:4608
	v_add_u32_e32 v24, 1, v22
	;; [unrolled: 13-line block ×7, first 2 shown]
	s_waitcnt lgkmcnt(0)
	v_cmp_gt_u32_e32 vcc, v23, v21
	v_cndmask_b32_e32 v2, v24, v2, vcc
	v_cndmask_b32_e32 v3, v3, v22, vcc
	v_sub_u32_e32 v22, v3, v2
	v_lshrrev_b32_e32 v23, 31, v22
	v_add_u32_e32 v22, v22, v23
	v_ashrrev_i32_e32 v22, 1, v22
	v_add_u32_e32 v22, v22, v2
	v_min_i32_e32 v22, 0x8ff, v22
	v_lshlrev_b32_e32 v23, 2, v22
	ds_read_b32 v23, v23 offset:4608
	v_add_u32_e32 v24, 1, v22
	s_waitcnt lgkmcnt(0)
	v_cmp_gt_u32_e32 vcc, v23, v21
	v_cndmask_b32_e32 v2, v24, v2, vcc
	v_cndmask_b32_e32 v3, v3, v22, vcc
	v_sub_u32_e32 v22, v3, v2
	v_lshrrev_b32_e32 v23, 31, v22
	v_add_u32_e32 v22, v22, v23
	v_ashrrev_i32_e32 v22, 1, v22
	v_add_u32_e32 v22, v22, v2
	v_min_i32_e32 v22, 0x8ff, v22
	v_lshlrev_b32_e32 v23, 2, v22
	ds_read_b32 v23, v23 offset:4608
	v_add_u32_e32 v24, 1, v22
	;; [unrolled: 13-line block ×4, first 2 shown]
	v_add_u32_e32 v23, 1, v21
	s_waitcnt lgkmcnt(0)
	v_cmp_gt_u32_e32 vcc, v22, v21
	v_cndmask_b32_e32 v32, v3, v2, vcc
	v_lshlrev_b32_e32 v24, 2, v32
	v_add_u32_e32 v2, 0x11fc, v24
	ds_read2_b32 v[2:3], v2 offset1:1
	v_lshl_add_u32 v22, v32, 1, -2
	ds_read_u16 v27, v22
	s_waitcnt lgkmcnt(1)
	v_sub_u32_e32 v22, v21, v2
	v_cmp_eq_u32_e32 vcc, v23, v3
	v_mov_b32_e32 v23, v22
	s_waitcnt lgkmcnt(0)
	v_mov_b32_e32 v28, v27
	s_and_saveexec_b64 s[0:1], vcc
	s_cbranch_execz .LBB1_11
; %bb.10:                               ;   in Loop: Header=BB1_9 Depth=1
	v_lshlrev_b32_e32 v2, 1, v32
	ds_read_b32 v24, v24 offset:4612
	ds_read_u16 v28, v2
	v_add_u32_e32 v32, 1, v32
	v_sub_u32_e32 v23, v21, v3
	s_waitcnt lgkmcnt(1)
	v_mov_b32_e32 v3, v24
.LBB1_11:                               ;   in Loop: Header=BB1_9 Depth=1
	s_or_b64 exec, exec, s[0:1]
	v_add_u32_e32 v2, 2, v21
	v_cmp_eq_u32_e32 vcc, v2, v3
	v_mov_b32_e32 v24, v23
	s_waitcnt lgkmcnt(0)
	v_mov_b32_e32 v30, v28
	s_and_saveexec_b64 s[0:1], vcc
	s_cbranch_execz .LBB1_13
; %bb.12:                               ;   in Loop: Header=BB1_9 Depth=1
	v_add_u32_e32 v2, 1, v32
	v_lshlrev_b32_e32 v24, 2, v2
	v_lshlrev_b32_e32 v25, 1, v32
	ds_read_b32 v26, v24 offset:4608
	ds_read_u16 v30, v25
	v_sub_u32_e32 v24, v21, v3
	v_mov_b32_e32 v32, v2
	s_waitcnt lgkmcnt(1)
	v_mov_b32_e32 v3, v26
.LBB1_13:                               ;   in Loop: Header=BB1_9 Depth=1
	s_or_b64 exec, exec, s[0:1]
	v_add_u32_e32 v2, 3, v21
	v_cmp_eq_u32_e32 vcc, v2, v3
	v_mov_b32_e32 v25, v24
	s_waitcnt lgkmcnt(0)
	v_mov_b32_e32 v33, v30
	s_and_saveexec_b64 s[0:1], vcc
	s_cbranch_execz .LBB1_15
; %bb.14:                               ;   in Loop: Header=BB1_9 Depth=1
	v_lshl_add_u32 v2, v32, 2, v20
	ds_read2_b32 v[2:3], v2 offset1:1
	v_lshlrev_b32_e32 v25, 1, v32
	ds_read_u16 v33, v25
	v_add_u32_e32 v32, 1, v32
	s_waitcnt lgkmcnt(1)
	v_sub_u32_e32 v25, v21, v2
.LBB1_15:                               ;   in Loop: Header=BB1_9 Depth=1
	s_or_b64 exec, exec, s[0:1]
	v_add_u32_e32 v2, 4, v21
	v_cmp_eq_u32_e32 vcc, v2, v3
	v_mov_b32_e32 v26, v25
	s_waitcnt lgkmcnt(0)
	v_mov_b32_e32 v34, v33
	s_and_saveexec_b64 s[0:1], vcc
	s_cbranch_execz .LBB1_17
; %bb.16:                               ;   in Loop: Header=BB1_9 Depth=1
	v_lshl_add_u32 v2, v32, 2, v20
	ds_read2_b32 v[2:3], v2 offset1:1
	v_lshlrev_b32_e32 v26, 1, v32
	ds_read_u16 v34, v26
	v_add_u32_e32 v32, 1, v32
	s_waitcnt lgkmcnt(1)
	v_sub_u32_e32 v26, v21, v2
.LBB1_17:                               ;   in Loop: Header=BB1_9 Depth=1
	;; [unrolled: 17-line block ×3, first 2 shown]
	s_or_b64 exec, exec, s[0:1]
	v_add_u32_e32 v2, 6, v21
	v_cmp_eq_u32_e32 vcc, v2, v3
	v_mov_b32_e32 v31, v29
	s_waitcnt lgkmcnt(0)
	v_mov_b32_e32 v36, v35
	s_and_saveexec_b64 s[0:1], vcc
	s_cbranch_execz .LBB1_21
; %bb.20:                               ;   in Loop: Header=BB1_9 Depth=1
	v_lshlrev_b32_e32 v2, 2, v32
	v_lshlrev_b32_e32 v3, 1, v32
	ds_read_b32 v2, v2 offset:4608
	ds_read_u16 v36, v3
	s_waitcnt lgkmcnt(1)
	v_sub_u32_e32 v31, v21, v2
.LBB1_21:                               ;   in Loop: Header=BB1_9 Depth=1
	s_or_b64 exec, exec, s[0:1]
	s_lshl_b64 s[0:1], s[16:17], 1
	v_mov_b32_e32 v3, s1
	v_add_co_u32_e32 v2, vcc, s0, v6
	s_min_u32 s12, s14, 0x700
	v_addc_co_u32_e32 v3, vcc, v7, v3, vcc
	v_cmp_gt_u32_e32 vcc, s12, v0
	s_and_saveexec_b64 s[0:1], vcc
	s_cbranch_execnz .LBB1_36
; %bb.22:                               ;   in Loop: Header=BB1_9 Depth=1
	s_or_b64 exec, exec, s[0:1]
	v_cmp_gt_u32_e64 s[0:1], s12, v8
	s_and_saveexec_b64 s[2:3], s[0:1]
	s_cbranch_execnz .LBB1_37
.LBB1_23:                               ;   in Loop: Header=BB1_9 Depth=1
	s_or_b64 exec, exec, s[2:3]
	v_cmp_gt_u32_e64 s[2:3], s12, v9
	s_and_saveexec_b64 s[4:5], s[2:3]
	s_cbranch_execnz .LBB1_38
.LBB1_24:                               ;   in Loop: Header=BB1_9 Depth=1
	s_or_b64 exec, exec, s[4:5]
	v_cmp_gt_u32_e64 s[4:5], s12, v10
	s_and_saveexec_b64 s[6:7], s[4:5]
	s_cbranch_execnz .LBB1_39
.LBB1_25:                               ;   in Loop: Header=BB1_9 Depth=1
	s_or_b64 exec, exec, s[6:7]
	v_cmp_gt_u32_e64 s[6:7], s12, v11
	s_and_saveexec_b64 s[8:9], s[6:7]
	s_cbranch_execnz .LBB1_40
.LBB1_26:                               ;   in Loop: Header=BB1_9 Depth=1
	s_or_b64 exec, exec, s[8:9]
	v_cmp_gt_u32_e64 s[8:9], s12, v12
	s_and_saveexec_b64 s[10:11], s[8:9]
	s_cbranch_execnz .LBB1_41
.LBB1_27:                               ;   in Loop: Header=BB1_9 Depth=1
	s_or_b64 exec, exec, s[10:11]
	v_cmp_gt_u32_e64 s[10:11], s12, v13
	s_and_saveexec_b64 s[12:13], s[10:11]
	s_cbranch_execz .LBB1_29
.LBB1_28:                               ;   in Loop: Header=BB1_9 Depth=1
	s_waitcnt lgkmcnt(0)
	global_store_short v[2:3], v36, off offset:12
.LBB1_29:                               ;   in Loop: Header=BB1_9 Depth=1
	s_or_b64 exec, exec, s[12:13]
	s_lshl_b64 s[12:13], s[16:17], 2
	v_mov_b32_e32 v3, s13
	v_add_co_u32_e64 v2, s[12:13], s12, v1
	v_addc_co_u32_e64 v3, s[12:13], v14, v3, s[12:13]
	s_and_saveexec_b64 s[12:13], vcc
	s_cbranch_execnz .LBB1_42
; %bb.30:                               ;   in Loop: Header=BB1_9 Depth=1
	s_or_b64 exec, exec, s[12:13]
	s_and_saveexec_b64 s[12:13], s[0:1]
	s_cbranch_execnz .LBB1_43
.LBB1_31:                               ;   in Loop: Header=BB1_9 Depth=1
	s_or_b64 exec, exec, s[12:13]
	s_and_saveexec_b64 s[0:1], s[2:3]
	s_cbranch_execnz .LBB1_44
.LBB1_32:                               ;   in Loop: Header=BB1_9 Depth=1
	s_or_b64 exec, exec, s[0:1]
	s_and_saveexec_b64 s[0:1], s[4:5]
	s_cbranch_execnz .LBB1_45
.LBB1_33:                               ;   in Loop: Header=BB1_9 Depth=1
	s_or_b64 exec, exec, s[0:1]
	s_and_saveexec_b64 s[0:1], s[6:7]
	s_cbranch_execnz .LBB1_46
.LBB1_34:                               ;   in Loop: Header=BB1_9 Depth=1
	s_or_b64 exec, exec, s[0:1]
	s_and_saveexec_b64 s[0:1], s[8:9]
	s_cbranch_execnz .LBB1_47
.LBB1_35:                               ;   in Loop: Header=BB1_9 Depth=1
	s_or_b64 exec, exec, s[0:1]
	s_and_saveexec_b64 s[0:1], s[10:11]
	s_cbranch_execz .LBB1_8
	s_branch .LBB1_48
.LBB1_36:                               ;   in Loop: Header=BB1_9 Depth=1
	global_store_short v[2:3], v27, off
	s_or_b64 exec, exec, s[0:1]
	v_cmp_gt_u32_e64 s[0:1], s12, v8
	s_and_saveexec_b64 s[2:3], s[0:1]
	s_cbranch_execz .LBB1_23
.LBB1_37:                               ;   in Loop: Header=BB1_9 Depth=1
	global_store_short v[2:3], v28, off offset:2
	s_or_b64 exec, exec, s[2:3]
	v_cmp_gt_u32_e64 s[2:3], s12, v9
	s_and_saveexec_b64 s[4:5], s[2:3]
	s_cbranch_execz .LBB1_24
.LBB1_38:                               ;   in Loop: Header=BB1_9 Depth=1
	global_store_short v[2:3], v30, off offset:4
	s_or_b64 exec, exec, s[4:5]
	v_cmp_gt_u32_e64 s[4:5], s12, v10
	s_and_saveexec_b64 s[6:7], s[4:5]
	s_cbranch_execz .LBB1_25
.LBB1_39:                               ;   in Loop: Header=BB1_9 Depth=1
	global_store_short v[2:3], v33, off offset:6
	s_or_b64 exec, exec, s[6:7]
	v_cmp_gt_u32_e64 s[6:7], s12, v11
	s_and_saveexec_b64 s[8:9], s[6:7]
	s_cbranch_execz .LBB1_26
.LBB1_40:                               ;   in Loop: Header=BB1_9 Depth=1
	global_store_short v[2:3], v34, off offset:8
	s_or_b64 exec, exec, s[8:9]
	v_cmp_gt_u32_e64 s[8:9], s12, v12
	s_and_saveexec_b64 s[10:11], s[8:9]
	s_cbranch_execz .LBB1_27
.LBB1_41:                               ;   in Loop: Header=BB1_9 Depth=1
	global_store_short v[2:3], v35, off offset:10
	s_or_b64 exec, exec, s[10:11]
	v_cmp_gt_u32_e64 s[10:11], s12, v13
	s_and_saveexec_b64 s[12:13], s[10:11]
	s_cbranch_execnz .LBB1_28
	s_branch .LBB1_29
.LBB1_42:                               ;   in Loop: Header=BB1_9 Depth=1
	global_store_dword v[2:3], v22, off
	s_or_b64 exec, exec, s[12:13]
	s_and_saveexec_b64 s[12:13], s[0:1]
	s_cbranch_execz .LBB1_31
.LBB1_43:                               ;   in Loop: Header=BB1_9 Depth=1
	v_add_u32_e32 v21, 1, v23
	global_store_dword v[2:3], v21, off offset:4
	s_or_b64 exec, exec, s[12:13]
	s_and_saveexec_b64 s[0:1], s[2:3]
	s_cbranch_execz .LBB1_32
.LBB1_44:                               ;   in Loop: Header=BB1_9 Depth=1
	v_add_u32_e32 v21, 2, v24
	global_store_dword v[2:3], v21, off offset:8
	s_or_b64 exec, exec, s[0:1]
	s_and_saveexec_b64 s[0:1], s[4:5]
	s_cbranch_execz .LBB1_33
.LBB1_45:                               ;   in Loop: Header=BB1_9 Depth=1
	v_add_u32_e32 v21, 3, v25
	global_store_dword v[2:3], v21, off offset:12
	s_or_b64 exec, exec, s[0:1]
	s_and_saveexec_b64 s[0:1], s[6:7]
	s_cbranch_execz .LBB1_34
.LBB1_46:                               ;   in Loop: Header=BB1_9 Depth=1
	v_add_u32_e32 v21, 4, v26
	global_store_dword v[2:3], v21, off offset:16
	s_or_b64 exec, exec, s[0:1]
	s_and_saveexec_b64 s[0:1], s[8:9]
	s_cbranch_execz .LBB1_35
.LBB1_47:                               ;   in Loop: Header=BB1_9 Depth=1
	v_add_u32_e32 v21, 5, v29
	global_store_dword v[2:3], v21, off offset:20
	s_or_b64 exec, exec, s[0:1]
	s_and_saveexec_b64 s[0:1], s[10:11]
	s_cbranch_execz .LBB1_8
.LBB1_48:                               ;   in Loop: Header=BB1_9 Depth=1
	v_add_u32_e32 v21, 6, v31
	global_store_dword v[2:3], v21, off offset:24
	s_branch .LBB1_8
.LBB1_49:
	s_endpgm
	.section	.rodata,"a",@progbits
	.p2align	6, 0x0
	.amdhsa_kernel _Z30block_run_length_decode_kernelI6__halfiLj256ELj9ELj7EEvPKT_PKT0_PS1_PS4_
		.amdhsa_group_segment_fixed_size 13824
		.amdhsa_private_segment_fixed_size 0
		.amdhsa_kernarg_size 32
		.amdhsa_user_sgpr_count 6
		.amdhsa_user_sgpr_private_segment_buffer 1
		.amdhsa_user_sgpr_dispatch_ptr 0
		.amdhsa_user_sgpr_queue_ptr 0
		.amdhsa_user_sgpr_kernarg_segment_ptr 1
		.amdhsa_user_sgpr_dispatch_id 0
		.amdhsa_user_sgpr_flat_scratch_init 0
		.amdhsa_user_sgpr_kernarg_preload_length 0
		.amdhsa_user_sgpr_kernarg_preload_offset 0
		.amdhsa_user_sgpr_private_segment_size 0
		.amdhsa_uses_dynamic_stack 0
		.amdhsa_system_sgpr_private_segment_wavefront_offset 0
		.amdhsa_system_sgpr_workgroup_id_x 1
		.amdhsa_system_sgpr_workgroup_id_y 0
		.amdhsa_system_sgpr_workgroup_id_z 0
		.amdhsa_system_sgpr_workgroup_info 0
		.amdhsa_system_vgpr_workitem_id 0
		.amdhsa_next_free_vgpr 37
		.amdhsa_next_free_sgpr 19
		.amdhsa_accum_offset 40
		.amdhsa_reserve_vcc 1
		.amdhsa_reserve_flat_scratch 0
		.amdhsa_float_round_mode_32 0
		.amdhsa_float_round_mode_16_64 0
		.amdhsa_float_denorm_mode_32 3
		.amdhsa_float_denorm_mode_16_64 3
		.amdhsa_dx10_clamp 1
		.amdhsa_ieee_mode 1
		.amdhsa_fp16_overflow 0
		.amdhsa_tg_split 0
		.amdhsa_exception_fp_ieee_invalid_op 0
		.amdhsa_exception_fp_denorm_src 0
		.amdhsa_exception_fp_ieee_div_zero 0
		.amdhsa_exception_fp_ieee_overflow 0
		.amdhsa_exception_fp_ieee_underflow 0
		.amdhsa_exception_fp_ieee_inexact 0
		.amdhsa_exception_int_div_zero 0
	.end_amdhsa_kernel
	.section	.text._Z30block_run_length_decode_kernelI6__halfiLj256ELj9ELj7EEvPKT_PKT0_PS1_PS4_,"axG",@progbits,_Z30block_run_length_decode_kernelI6__halfiLj256ELj9ELj7EEvPKT_PKT0_PS1_PS4_,comdat
.Lfunc_end1:
	.size	_Z30block_run_length_decode_kernelI6__halfiLj256ELj9ELj7EEvPKT_PKT0_PS1_PS4_, .Lfunc_end1-_Z30block_run_length_decode_kernelI6__halfiLj256ELj9ELj7EEvPKT_PKT0_PS1_PS4_
                                        ; -- End function
	.section	.AMDGPU.csdata,"",@progbits
; Kernel info:
; codeLenInByte = 2744
; NumSgprs: 23
; NumVgprs: 37
; NumAgprs: 0
; TotalNumVgprs: 37
; ScratchSize: 0
; MemoryBound: 0
; FloatMode: 240
; IeeeMode: 1
; LDSByteSize: 13824 bytes/workgroup (compile time only)
; SGPRBlocks: 2
; VGPRBlocks: 4
; NumSGPRsForWavesPerEU: 23
; NumVGPRsForWavesPerEU: 37
; AccumOffset: 40
; Occupancy: 4
; WaveLimiterHint : 0
; COMPUTE_PGM_RSRC2:SCRATCH_EN: 0
; COMPUTE_PGM_RSRC2:USER_SGPR: 6
; COMPUTE_PGM_RSRC2:TRAP_HANDLER: 0
; COMPUTE_PGM_RSRC2:TGID_X_EN: 1
; COMPUTE_PGM_RSRC2:TGID_Y_EN: 0
; COMPUTE_PGM_RSRC2:TGID_Z_EN: 0
; COMPUTE_PGM_RSRC2:TIDIG_COMP_CNT: 0
; COMPUTE_PGM_RSRC3_GFX90A:ACCUM_OFFSET: 9
; COMPUTE_PGM_RSRC3_GFX90A:TG_SPLIT: 0
	.section	.text._Z30block_run_length_decode_kernelIfiLj256ELj9ELj7EEvPKT_PKT0_PS0_PS3_,"axG",@progbits,_Z30block_run_length_decode_kernelIfiLj256ELj9ELj7EEvPKT_PKT0_PS0_PS3_,comdat
	.protected	_Z30block_run_length_decode_kernelIfiLj256ELj9ELj7EEvPKT_PKT0_PS0_PS3_ ; -- Begin function _Z30block_run_length_decode_kernelIfiLj256ELj9ELj7EEvPKT_PKT0_PS0_PS3_
	.globl	_Z30block_run_length_decode_kernelIfiLj256ELj9ELj7EEvPKT_PKT0_PS0_PS3_
	.p2align	8
	.type	_Z30block_run_length_decode_kernelIfiLj256ELj9ELj7EEvPKT_PKT0_PS0_PS3_,@function
_Z30block_run_length_decode_kernelIfiLj256ELj9ELj7EEvPKT_PKT0_PS0_PS3_: ; @_Z30block_run_length_decode_kernelIfiLj256ELj9ELj7EEvPKT_PKT0_PS0_PS3_
; %bb.0:
	s_load_dwordx8 s[8:15], s[4:5], 0x0
	v_lshl_or_b32 v18, s6, 8, v0
	v_lshl_add_u32 v2, v18, 3, v18
	v_mov_b32_e32 v3, 0
	v_lshlrev_b64 v[2:3], 2, v[2:3]
	s_waitcnt lgkmcnt(0)
	v_mov_b32_e32 v1, s11
	v_add_co_u32_e32 v4, vcc, s10, v2
	v_addc_co_u32_e32 v5, vcc, v1, v3, vcc
	global_load_dwordx4 v[14:17], v[4:5], off
	global_load_dwordx4 v[10:13], v[4:5], off offset:16
	global_load_dword v22, v[4:5], off offset:32
	v_mov_b32_e32 v1, s9
	v_add_co_u32_e32 v20, vcc, s8, v2
	v_addc_co_u32_e32 v21, vcc, v1, v3, vcc
	global_load_dword v1, v[20:21], off offset:32
	global_load_dwordx4 v[2:5], v[20:21], off offset:16
	global_load_dwordx4 v[6:9], v[20:21], off
	v_mbcnt_lo_u32_b32 v19, -1, 0
	v_mbcnt_hi_u32_b32 v19, -1, v19
	v_and_b32_e32 v21, 15, v19
	v_cmp_ne_u32_e32 vcc, 0, v21
	v_bfe_i32 v24, v19, 4, 1
	v_or_b32_e32 v23, 63, v0
	v_lshrrev_b32_e32 v20, 6, v0
	s_waitcnt vmcnt(5)
	v_add3_u32 v25, v15, v14, v16
	s_waitcnt vmcnt(4)
	v_add3_u32 v25, v25, v17, v10
	v_add3_u32 v25, v25, v11, v12
	s_waitcnt vmcnt(3)
	v_add3_u32 v22, v25, v13, v22
	s_nop 1
	v_mov_b32_dpp v25, v22 row_shr:1 row_mask:0xf bank_mask:0xf
	v_cndmask_b32_e32 v25, 0, v25, vcc
	v_add_u32_e32 v22, v25, v22
	v_cmp_lt_u32_e32 vcc, 1, v21
	s_nop 0
	v_mov_b32_dpp v25, v22 row_shr:2 row_mask:0xf bank_mask:0xf
	v_cndmask_b32_e32 v25, 0, v25, vcc
	v_add_u32_e32 v22, v22, v25
	v_cmp_lt_u32_e32 vcc, 3, v21
	s_nop 0
	v_mov_b32_dpp v25, v22 row_shr:4 row_mask:0xf bank_mask:0xf
	v_cndmask_b32_e32 v25, 0, v25, vcc
	v_add_u32_e32 v22, v22, v25
	v_cmp_lt_u32_e32 vcc, 7, v21
	s_nop 0
	v_mov_b32_dpp v25, v22 row_shr:8 row_mask:0xf bank_mask:0xf
	v_cndmask_b32_e32 v21, 0, v25, vcc
	v_add_u32_e32 v21, v22, v21
	v_cmp_lt_u32_e32 vcc, 31, v19
	s_nop 0
	v_mov_b32_dpp v22, v21 row_bcast:15 row_mask:0xf bank_mask:0xf
	v_and_b32_e32 v22, v24, v22
	v_add_u32_e32 v21, v21, v22
	s_nop 1
	v_mov_b32_dpp v22, v21 row_bcast:31 row_mask:0xf bank_mask:0xf
	v_cndmask_b32_e32 v22, 0, v22, vcc
	v_add_u32_e32 v21, v21, v22
	v_cmp_eq_u32_e32 vcc, v23, v0
	s_and_saveexec_b64 s[0:1], vcc
	s_cbranch_execz .LBB2_2
; %bb.1:
	v_lshlrev_b32_e32 v22, 2, v20
	ds_write_b32 v22, v21
.LBB2_2:
	s_or_b64 exec, exec, s[0:1]
	v_cmp_gt_u32_e32 vcc, 4, v0
	s_waitcnt lgkmcnt(0)
	s_barrier
	s_and_saveexec_b64 s[0:1], vcc
	s_cbranch_execz .LBB2_4
; %bb.3:
	v_lshlrev_b32_e32 v22, 2, v0
	ds_read_b32 v23, v22
	v_and_b32_e32 v24, 3, v19
	v_cmp_ne_u32_e32 vcc, 0, v24
	s_waitcnt lgkmcnt(0)
	v_mov_b32_dpp v25, v23 row_shr:1 row_mask:0xf bank_mask:0xf
	v_cndmask_b32_e32 v25, 0, v25, vcc
	v_add_u32_e32 v23, v25, v23
	v_cmp_lt_u32_e32 vcc, 1, v24
	s_nop 0
	v_mov_b32_dpp v25, v23 row_shr:2 row_mask:0xf bank_mask:0xf
	v_cndmask_b32_e32 v24, 0, v25, vcc
	v_add_u32_e32 v23, v23, v24
	ds_write_b32 v22, v23
.LBB2_4:
	s_or_b64 exec, exec, s[0:1]
	v_cmp_lt_u32_e32 vcc, 63, v0
	v_mov_b32_e32 v22, 0
	v_mov_b32_e32 v23, 0
	s_waitcnt lgkmcnt(0)
	s_barrier
	s_and_saveexec_b64 s[0:1], vcc
	s_cbranch_execz .LBB2_6
; %bb.5:
	v_lshl_add_u32 v20, v20, 2, -4
	ds_read_b32 v23, v20
.LBB2_6:
	s_or_b64 exec, exec, s[0:1]
	s_waitcnt lgkmcnt(0)
	v_add_u32_e32 v20, v23, v21
	v_add_u32_e32 v21, -1, v19
	v_and_b32_e32 v24, 64, v19
	v_cmp_lt_i32_e32 vcc, v21, v24
	v_cndmask_b32_e32 v21, v21, v19, vcc
	v_lshlrev_b32_e32 v21, 2, v21
	ds_bpermute_b32 v20, v21, v20
	v_cmp_eq_u32_e32 vcc, 0, v19
	v_mul_u32_u24_e32 v21, 9, v0
	v_lshlrev_b32_e32 v21, 2, v21
	s_mov_b32 s17, 0
	s_waitcnt lgkmcnt(0)
	v_cndmask_b32_e32 v19, v20, v23, vcc
	v_cmp_ne_u32_e32 vcc, 0, v0
	v_cndmask_b32_e32 v19, 0, v19, vcc
	v_add_u32_e32 v14, v19, v14
	v_add_u32_e32 v15, v14, v15
	ds_read_b32 v20, v22 offset:12
	v_add_u32_e32 v16, v15, v16
	v_add_u32_e32 v17, v16, v17
	;; [unrolled: 1-line block ×4, first 2 shown]
	s_waitcnt lgkmcnt(0)
	s_barrier
	v_add_u32_e32 v22, 0x2400, v21
	s_waitcnt vmcnt(0)
	ds_write2_b32 v21, v6, v7 offset1:1
	ds_write2_b32 v22, v19, v14 offset1:1
	v_add_u32_e32 v6, 0x2408, v21
	v_add_u32_e32 v12, v11, v12
	ds_write2_b32 v21, v8, v9 offset0:2 offset1:3
	ds_write2_b32 v6, v15, v16 offset1:1
	v_add_u32_e32 v6, 0x2410, v21
	ds_write2_b32 v21, v2, v3 offset0:4 offset1:5
	ds_write2_b32 v6, v17, v10 offset1:1
	v_add_u32_e32 v2, 0x2418, v21
	v_cmp_eq_u32_e32 vcc, 0, v20
	v_add_u32_e32 v13, v12, v13
	v_readfirstlane_b32 s18, v20
	ds_write2_b32 v21, v4, v5 offset0:6 offset1:7
	ds_write2_b32 v2, v11, v12 offset1:1
	v_add_u32_e32 v2, 32, v21
	ds_write2st64_b32 v2, v1, v13 offset1:36
	s_waitcnt lgkmcnt(0)
	s_barrier
	s_cbranch_vccnz .LBB2_49
; %bb.7:
	v_mul_u32_u24_e32 v6, 7, v0
	v_mov_b32_e32 v1, 0
	v_mul_lo_u32 v0, v18, 7
	ds_read_b32 v7, v1 offset:13824
	v_lshlrev_b64 v[2:3], 2, v[0:1]
	v_mov_b32_e32 v4, s13
	v_add_co_u32_e32 v1, vcc, s12, v2
	v_addc_co_u32_e32 v8, vcc, v4, v3, vcc
	v_mov_b32_e32 v4, s15
	v_add_co_u32_e32 v15, vcc, s14, v2
	v_add_u32_e32 v9, 1, v0
	v_add_u32_e32 v10, 2, v0
	;; [unrolled: 1-line block ×6, first 2 shown]
	v_addc_co_u32_e32 v16, vcc, v4, v3, vcc
	v_mov_b32_e32 v17, 0x481
	v_mov_b32_e32 v18, 0x900
	;; [unrolled: 1-line block ×5, first 2 shown]
	s_mov_b32 s19, s18
	s_mov_b32 s16, s17
	s_branch .LBB2_9
.LBB2_8:                                ;   in Loop: Header=BB2_9 Depth=1
	s_or_b64 exec, exec, s[0:1]
	s_addk_i32 s16, 0x700
	s_addk_i32 s19, 0xf900
	s_cmp_lt_u32 s16, s18
	s_cbranch_scc0 .LBB2_49
.LBB2_9:                                ; =>This Inner Loop Header: Depth=1
	v_add_u32_e32 v4, s16, v6
	s_waitcnt lgkmcnt(0)
	v_cmp_gt_u32_e32 vcc, v7, v4
	v_cndmask_b32_e32 v3, v20, v21, vcc
	v_lshlrev_b32_e32 v5, 2, v3
	ds_read_b32 v5, v5 offset:9216
	v_cndmask_b32_e64 v2, v17, 0, vcc
	v_cndmask_b32_e32 v22, v18, v19, vcc
	v_or_b32_e32 v23, 1, v3
	s_waitcnt lgkmcnt(0)
	v_cmp_gt_u32_e32 vcc, v5, v4
	v_cndmask_b32_e32 v2, v23, v2, vcc
	v_cndmask_b32_e32 v3, v22, v3, vcc
	v_sub_u32_e32 v5, v3, v2
	v_lshrrev_b16_e32 v22, 15, v5
	v_add_u16_e32 v5, v5, v22
	v_ashrrev_i16_e32 v5, 1, v5
	v_add_u32_sdwa v5, v2, sext(v5) dst_sel:DWORD dst_unused:UNUSED_PAD src0_sel:DWORD src1_sel:WORD_0
	v_min_i32_e32 v5, 0x8ff, v5
	v_lshlrev_b32_e32 v22, 2, v5
	ds_read_b32 v22, v22 offset:9216
	v_add_u32_e32 v23, 1, v5
	s_waitcnt lgkmcnt(0)
	v_cmp_gt_u32_e32 vcc, v22, v4
	v_cndmask_b32_e32 v2, v23, v2, vcc
	v_cndmask_b32_e32 v3, v3, v5, vcc
	v_sub_u32_e32 v5, v3, v2
	v_lshrrev_b16_e32 v22, 15, v5
	v_add_u16_e32 v5, v5, v22
	v_ashrrev_i16_e32 v5, 1, v5
	v_add_u32_sdwa v5, v2, sext(v5) dst_sel:DWORD dst_unused:UNUSED_PAD src0_sel:DWORD src1_sel:WORD_0
	v_min_i32_e32 v5, 0x8ff, v5
	v_lshlrev_b32_e32 v22, 2, v5
	ds_read_b32 v22, v22 offset:9216
	v_add_u32_e32 v23, 1, v5
	;; [unrolled: 13-line block ×7, first 2 shown]
	s_waitcnt lgkmcnt(0)
	v_cmp_gt_u32_e32 vcc, v22, v4
	v_cndmask_b32_e32 v2, v23, v2, vcc
	v_cndmask_b32_e32 v3, v3, v5, vcc
	v_sub_u32_e32 v5, v3, v2
	v_lshrrev_b32_e32 v22, 31, v5
	v_add_u32_e32 v5, v5, v22
	v_ashrrev_i32_e32 v5, 1, v5
	v_add_u32_e32 v5, v5, v2
	v_min_i32_e32 v5, 0x8ff, v5
	v_lshlrev_b32_e32 v22, 2, v5
	ds_read_b32 v22, v22 offset:9216
	v_add_u32_e32 v23, 1, v5
	s_waitcnt lgkmcnt(0)
	v_cmp_gt_u32_e32 vcc, v22, v4
	v_cndmask_b32_e32 v2, v23, v2, vcc
	v_cndmask_b32_e32 v3, v3, v5, vcc
	v_sub_u32_e32 v5, v3, v2
	v_lshrrev_b32_e32 v22, 31, v5
	v_add_u32_e32 v5, v5, v22
	v_ashrrev_i32_e32 v5, 1, v5
	v_add_u32_e32 v5, v5, v2
	v_min_i32_e32 v5, 0x8ff, v5
	v_lshlrev_b32_e32 v22, 2, v5
	ds_read_b32 v22, v22 offset:9216
	v_add_u32_e32 v23, 1, v5
	s_waitcnt lgkmcnt(0)
	v_cmp_gt_u32_e32 vcc, v22, v4
	v_cndmask_b32_e32 v2, v23, v2, vcc
	v_cndmask_b32_e32 v3, v3, v5, vcc
	v_sub_u32_e32 v5, v3, v2
	v_lshrrev_b32_e32 v22, 31, v5
	v_add_u32_e32 v5, v5, v22
	v_ashrrev_i32_e32 v5, 1, v5
	v_add_u32_e32 v5, v5, v2
	v_min_i32_e32 v5, 0x8ff, v5
	v_lshlrev_b32_e32 v22, 2, v5
	ds_read_b32 v22, v22 offset:9216
	v_add_u32_e32 v23, 1, v5
	s_waitcnt lgkmcnt(0)
	v_cmp_gt_u32_e32 vcc, v22, v4
	v_cndmask_b32_e32 v2, v23, v2, vcc
	v_cndmask_b32_e32 v3, v3, v5, vcc
	v_sub_u32_e32 v3, v3, v2
	v_lshrrev_b32_e32 v5, 31, v3
	v_add_u32_e32 v3, v3, v5
	v_ashrrev_i32_e32 v3, 1, v3
	v_add_u32_e32 v3, v3, v2
	v_min_i32_e32 v3, 0x8ff, v3
	v_lshlrev_b32_e32 v5, 2, v3
	ds_read_b32 v5, v5 offset:9216
	v_add_u32_e32 v3, 1, v3
	s_waitcnt lgkmcnt(0)
	v_cmp_gt_u32_e32 vcc, v5, v4
	v_cndmask_b32_e32 v5, v3, v2, vcc
	v_lshlrev_b32_e32 v24, 2, v5
	v_add_u32_e32 v2, 0x23fc, v24
	ds_read2_b32 v[2:3], v2 offset1:1
	v_add_u32_e32 v22, -4, v24
	ds_read_b32 v27, v22
	v_add_u32_e32 v22, 1, v4
	s_waitcnt lgkmcnt(1)
	v_sub_u32_e32 v23, v4, v2
	v_cmp_eq_u32_e32 vcc, v22, v3
	v_mov_b32_e32 v22, v23
	s_waitcnt lgkmcnt(0)
	v_mov_b32_e32 v28, v27
	s_and_saveexec_b64 s[0:1], vcc
	s_cbranch_execz .LBB2_11
; %bb.10:                               ;   in Loop: Header=BB2_9 Depth=1
	ds_read_b32 v2, v24 offset:9220
	ds_read_b32 v28, v24
	v_add_u32_e32 v5, 1, v5
	v_sub_u32_e32 v22, v4, v3
	s_waitcnt lgkmcnt(1)
	v_mov_b32_e32 v3, v2
.LBB2_11:                               ;   in Loop: Header=BB2_9 Depth=1
	s_or_b64 exec, exec, s[0:1]
	v_add_u32_e32 v2, 2, v4
	v_cmp_eq_u32_e32 vcc, v2, v3
	v_mov_b32_e32 v24, v22
	s_waitcnt lgkmcnt(0)
	v_mov_b32_e32 v30, v28
	s_and_saveexec_b64 s[0:1], vcc
	s_cbranch_execz .LBB2_13
; %bb.12:                               ;   in Loop: Header=BB2_9 Depth=1
	v_lshlrev_b32_e32 v2, 2, v5
	ds_read_b32 v25, v2 offset:9220
	ds_read_b32 v30, v2
	v_add_u32_e32 v5, 1, v5
	v_sub_u32_e32 v24, v4, v3
	s_waitcnt lgkmcnt(1)
	v_mov_b32_e32 v3, v25
.LBB2_13:                               ;   in Loop: Header=BB2_9 Depth=1
	s_or_b64 exec, exec, s[0:1]
	v_add_u32_e32 v2, 3, v4
	v_cmp_eq_u32_e32 vcc, v2, v3
	v_mov_b32_e32 v25, v24
	s_waitcnt lgkmcnt(0)
	v_mov_b32_e32 v32, v30
	s_and_saveexec_b64 s[0:1], vcc
	s_cbranch_execz .LBB2_15
; %bb.14:                               ;   in Loop: Header=BB2_9 Depth=1
	v_lshlrev_b32_e32 v25, 2, v5
	v_add_u32_e32 v2, 0x2400, v25
	ds_read2_b32 v[2:3], v2 offset1:1
	ds_read_b32 v32, v25
	v_add_u32_e32 v5, 1, v5
	s_waitcnt lgkmcnt(1)
	v_sub_u32_e32 v25, v4, v2
.LBB2_15:                               ;   in Loop: Header=BB2_9 Depth=1
	s_or_b64 exec, exec, s[0:1]
	v_add_u32_e32 v2, 4, v4
	v_cmp_eq_u32_e32 vcc, v2, v3
	v_mov_b32_e32 v26, v25
	s_waitcnt lgkmcnt(0)
	v_mov_b32_e32 v33, v32
	s_and_saveexec_b64 s[0:1], vcc
	s_cbranch_execz .LBB2_17
; %bb.16:                               ;   in Loop: Header=BB2_9 Depth=1
	v_lshlrev_b32_e32 v26, 2, v5
	v_add_u32_e32 v2, 0x2400, v26
	ds_read2_b32 v[2:3], v2 offset1:1
	ds_read_b32 v33, v26
	v_add_u32_e32 v5, 1, v5
	s_waitcnt lgkmcnt(1)
	v_sub_u32_e32 v26, v4, v2
.LBB2_17:                               ;   in Loop: Header=BB2_9 Depth=1
	;; [unrolled: 17-line block ×3, first 2 shown]
	s_or_b64 exec, exec, s[0:1]
	v_add_u32_e32 v2, 6, v4
	v_cmp_eq_u32_e32 vcc, v2, v3
	v_mov_b32_e32 v31, v29
	s_waitcnt lgkmcnt(0)
	v_mov_b32_e32 v2, v34
	s_and_saveexec_b64 s[0:1], vcc
	s_cbranch_execz .LBB2_21
; %bb.20:                               ;   in Loop: Header=BB2_9 Depth=1
	v_lshlrev_b32_e32 v2, 2, v5
	ds_read2st64_b32 v[2:3], v2 offset1:36
	s_waitcnt lgkmcnt(0)
	v_sub_u32_e32 v31, v4, v3
.LBB2_21:                               ;   in Loop: Header=BB2_9 Depth=1
	s_or_b64 exec, exec, s[0:1]
	s_lshl_b64 s[12:13], s[16:17], 2
	v_mov_b32_e32 v3, s13
	v_add_co_u32_e32 v4, vcc, s12, v1
	s_min_u32 s14, s19, 0x700
	v_addc_co_u32_e32 v5, vcc, v8, v3, vcc
	v_cmp_gt_u32_e32 vcc, s14, v0
	s_and_saveexec_b64 s[0:1], vcc
	s_cbranch_execnz .LBB2_36
; %bb.22:                               ;   in Loop: Header=BB2_9 Depth=1
	s_or_b64 exec, exec, s[0:1]
	v_cmp_gt_u32_e64 s[0:1], s14, v9
	s_and_saveexec_b64 s[2:3], s[0:1]
	s_cbranch_execnz .LBB2_37
.LBB2_23:                               ;   in Loop: Header=BB2_9 Depth=1
	s_or_b64 exec, exec, s[2:3]
	v_cmp_gt_u32_e64 s[2:3], s14, v10
	s_and_saveexec_b64 s[4:5], s[2:3]
	s_cbranch_execnz .LBB2_38
.LBB2_24:                               ;   in Loop: Header=BB2_9 Depth=1
	s_or_b64 exec, exec, s[4:5]
	v_cmp_gt_u32_e64 s[4:5], s14, v11
	s_and_saveexec_b64 s[6:7], s[4:5]
	s_cbranch_execnz .LBB2_39
.LBB2_25:                               ;   in Loop: Header=BB2_9 Depth=1
	s_or_b64 exec, exec, s[6:7]
	v_cmp_gt_u32_e64 s[6:7], s14, v12
	s_and_saveexec_b64 s[8:9], s[6:7]
	s_cbranch_execnz .LBB2_40
.LBB2_26:                               ;   in Loop: Header=BB2_9 Depth=1
	s_or_b64 exec, exec, s[8:9]
	v_cmp_gt_u32_e64 s[8:9], s14, v13
	s_and_saveexec_b64 s[10:11], s[8:9]
	s_cbranch_execnz .LBB2_41
.LBB2_27:                               ;   in Loop: Header=BB2_9 Depth=1
	s_or_b64 exec, exec, s[10:11]
	v_cmp_gt_u32_e64 s[10:11], s14, v14
	s_and_saveexec_b64 s[14:15], s[10:11]
	s_cbranch_execz .LBB2_29
.LBB2_28:                               ;   in Loop: Header=BB2_9 Depth=1
	global_store_dword v[4:5], v2, off offset:24
.LBB2_29:                               ;   in Loop: Header=BB2_9 Depth=1
	s_or_b64 exec, exec, s[14:15]
	v_mov_b32_e32 v3, s13
	v_add_co_u32_e64 v2, s[12:13], s12, v15
	v_addc_co_u32_e64 v3, s[12:13], v16, v3, s[12:13]
	s_and_saveexec_b64 s[12:13], vcc
	s_cbranch_execnz .LBB2_42
; %bb.30:                               ;   in Loop: Header=BB2_9 Depth=1
	s_or_b64 exec, exec, s[12:13]
	s_and_saveexec_b64 s[12:13], s[0:1]
	s_cbranch_execnz .LBB2_43
.LBB2_31:                               ;   in Loop: Header=BB2_9 Depth=1
	s_or_b64 exec, exec, s[12:13]
	s_and_saveexec_b64 s[0:1], s[2:3]
	s_cbranch_execnz .LBB2_44
.LBB2_32:                               ;   in Loop: Header=BB2_9 Depth=1
	s_or_b64 exec, exec, s[0:1]
	s_and_saveexec_b64 s[0:1], s[4:5]
	s_cbranch_execnz .LBB2_45
.LBB2_33:                               ;   in Loop: Header=BB2_9 Depth=1
	s_or_b64 exec, exec, s[0:1]
	s_and_saveexec_b64 s[0:1], s[6:7]
	s_cbranch_execnz .LBB2_46
.LBB2_34:                               ;   in Loop: Header=BB2_9 Depth=1
	s_or_b64 exec, exec, s[0:1]
	s_and_saveexec_b64 s[0:1], s[8:9]
	s_cbranch_execnz .LBB2_47
.LBB2_35:                               ;   in Loop: Header=BB2_9 Depth=1
	s_or_b64 exec, exec, s[0:1]
	s_and_saveexec_b64 s[0:1], s[10:11]
	s_cbranch_execz .LBB2_8
	s_branch .LBB2_48
.LBB2_36:                               ;   in Loop: Header=BB2_9 Depth=1
	global_store_dword v[4:5], v27, off
	s_or_b64 exec, exec, s[0:1]
	v_cmp_gt_u32_e64 s[0:1], s14, v9
	s_and_saveexec_b64 s[2:3], s[0:1]
	s_cbranch_execz .LBB2_23
.LBB2_37:                               ;   in Loop: Header=BB2_9 Depth=1
	global_store_dword v[4:5], v28, off offset:4
	s_or_b64 exec, exec, s[2:3]
	v_cmp_gt_u32_e64 s[2:3], s14, v10
	s_and_saveexec_b64 s[4:5], s[2:3]
	s_cbranch_execz .LBB2_24
.LBB2_38:                               ;   in Loop: Header=BB2_9 Depth=1
	global_store_dword v[4:5], v30, off offset:8
	s_or_b64 exec, exec, s[4:5]
	v_cmp_gt_u32_e64 s[4:5], s14, v11
	s_and_saveexec_b64 s[6:7], s[4:5]
	s_cbranch_execz .LBB2_25
.LBB2_39:                               ;   in Loop: Header=BB2_9 Depth=1
	global_store_dword v[4:5], v32, off offset:12
	s_or_b64 exec, exec, s[6:7]
	v_cmp_gt_u32_e64 s[6:7], s14, v12
	s_and_saveexec_b64 s[8:9], s[6:7]
	s_cbranch_execz .LBB2_26
.LBB2_40:                               ;   in Loop: Header=BB2_9 Depth=1
	global_store_dword v[4:5], v33, off offset:16
	s_or_b64 exec, exec, s[8:9]
	v_cmp_gt_u32_e64 s[8:9], s14, v13
	s_and_saveexec_b64 s[10:11], s[8:9]
	s_cbranch_execz .LBB2_27
.LBB2_41:                               ;   in Loop: Header=BB2_9 Depth=1
	global_store_dword v[4:5], v34, off offset:20
	s_or_b64 exec, exec, s[10:11]
	v_cmp_gt_u32_e64 s[10:11], s14, v14
	s_and_saveexec_b64 s[14:15], s[10:11]
	s_cbranch_execnz .LBB2_28
	s_branch .LBB2_29
.LBB2_42:                               ;   in Loop: Header=BB2_9 Depth=1
	global_store_dword v[2:3], v23, off
	s_or_b64 exec, exec, s[12:13]
	s_and_saveexec_b64 s[12:13], s[0:1]
	s_cbranch_execz .LBB2_31
.LBB2_43:                               ;   in Loop: Header=BB2_9 Depth=1
	v_add_u32_e32 v4, 1, v22
	global_store_dword v[2:3], v4, off offset:4
	s_or_b64 exec, exec, s[12:13]
	s_and_saveexec_b64 s[0:1], s[2:3]
	s_cbranch_execz .LBB2_32
.LBB2_44:                               ;   in Loop: Header=BB2_9 Depth=1
	v_add_u32_e32 v4, 2, v24
	global_store_dword v[2:3], v4, off offset:8
	s_or_b64 exec, exec, s[0:1]
	s_and_saveexec_b64 s[0:1], s[4:5]
	s_cbranch_execz .LBB2_33
.LBB2_45:                               ;   in Loop: Header=BB2_9 Depth=1
	v_add_u32_e32 v4, 3, v25
	global_store_dword v[2:3], v4, off offset:12
	s_or_b64 exec, exec, s[0:1]
	s_and_saveexec_b64 s[0:1], s[6:7]
	s_cbranch_execz .LBB2_34
.LBB2_46:                               ;   in Loop: Header=BB2_9 Depth=1
	v_add_u32_e32 v4, 4, v26
	global_store_dword v[2:3], v4, off offset:16
	s_or_b64 exec, exec, s[0:1]
	s_and_saveexec_b64 s[0:1], s[8:9]
	s_cbranch_execz .LBB2_35
.LBB2_47:                               ;   in Loop: Header=BB2_9 Depth=1
	v_add_u32_e32 v4, 5, v29
	global_store_dword v[2:3], v4, off offset:20
	s_or_b64 exec, exec, s[0:1]
	s_and_saveexec_b64 s[0:1], s[10:11]
	s_cbranch_execz .LBB2_8
.LBB2_48:                               ;   in Loop: Header=BB2_9 Depth=1
	v_add_u32_e32 v4, 6, v31
	global_store_dword v[2:3], v4, off offset:24
	s_branch .LBB2_8
.LBB2_49:
	s_endpgm
	.section	.rodata,"a",@progbits
	.p2align	6, 0x0
	.amdhsa_kernel _Z30block_run_length_decode_kernelIfiLj256ELj9ELj7EEvPKT_PKT0_PS0_PS3_
		.amdhsa_group_segment_fixed_size 18432
		.amdhsa_private_segment_fixed_size 0
		.amdhsa_kernarg_size 32
		.amdhsa_user_sgpr_count 6
		.amdhsa_user_sgpr_private_segment_buffer 1
		.amdhsa_user_sgpr_dispatch_ptr 0
		.amdhsa_user_sgpr_queue_ptr 0
		.amdhsa_user_sgpr_kernarg_segment_ptr 1
		.amdhsa_user_sgpr_dispatch_id 0
		.amdhsa_user_sgpr_flat_scratch_init 0
		.amdhsa_user_sgpr_kernarg_preload_length 0
		.amdhsa_user_sgpr_kernarg_preload_offset 0
		.amdhsa_user_sgpr_private_segment_size 0
		.amdhsa_uses_dynamic_stack 0
		.amdhsa_system_sgpr_private_segment_wavefront_offset 0
		.amdhsa_system_sgpr_workgroup_id_x 1
		.amdhsa_system_sgpr_workgroup_id_y 0
		.amdhsa_system_sgpr_workgroup_id_z 0
		.amdhsa_system_sgpr_workgroup_info 0
		.amdhsa_system_vgpr_workitem_id 0
		.amdhsa_next_free_vgpr 35
		.amdhsa_next_free_sgpr 20
		.amdhsa_accum_offset 36
		.amdhsa_reserve_vcc 1
		.amdhsa_reserve_flat_scratch 0
		.amdhsa_float_round_mode_32 0
		.amdhsa_float_round_mode_16_64 0
		.amdhsa_float_denorm_mode_32 3
		.amdhsa_float_denorm_mode_16_64 3
		.amdhsa_dx10_clamp 1
		.amdhsa_ieee_mode 1
		.amdhsa_fp16_overflow 0
		.amdhsa_tg_split 0
		.amdhsa_exception_fp_ieee_invalid_op 0
		.amdhsa_exception_fp_denorm_src 0
		.amdhsa_exception_fp_ieee_div_zero 0
		.amdhsa_exception_fp_ieee_overflow 0
		.amdhsa_exception_fp_ieee_underflow 0
		.amdhsa_exception_fp_ieee_inexact 0
		.amdhsa_exception_int_div_zero 0
	.end_amdhsa_kernel
	.section	.text._Z30block_run_length_decode_kernelIfiLj256ELj9ELj7EEvPKT_PKT0_PS0_PS3_,"axG",@progbits,_Z30block_run_length_decode_kernelIfiLj256ELj9ELj7EEvPKT_PKT0_PS0_PS3_,comdat
.Lfunc_end2:
	.size	_Z30block_run_length_decode_kernelIfiLj256ELj9ELj7EEvPKT_PKT0_PS0_PS3_, .Lfunc_end2-_Z30block_run_length_decode_kernelIfiLj256ELj9ELj7EEvPKT_PKT0_PS0_PS3_
                                        ; -- End function
	.section	.AMDGPU.csdata,"",@progbits
; Kernel info:
; codeLenInByte = 2692
; NumSgprs: 24
; NumVgprs: 35
; NumAgprs: 0
; TotalNumVgprs: 35
; ScratchSize: 0
; MemoryBound: 0
; FloatMode: 240
; IeeeMode: 1
; LDSByteSize: 18432 bytes/workgroup (compile time only)
; SGPRBlocks: 2
; VGPRBlocks: 4
; NumSGPRsForWavesPerEU: 24
; NumVGPRsForWavesPerEU: 35
; AccumOffset: 36
; Occupancy: 3
; WaveLimiterHint : 0
; COMPUTE_PGM_RSRC2:SCRATCH_EN: 0
; COMPUTE_PGM_RSRC2:USER_SGPR: 6
; COMPUTE_PGM_RSRC2:TRAP_HANDLER: 0
; COMPUTE_PGM_RSRC2:TGID_X_EN: 1
; COMPUTE_PGM_RSRC2:TGID_Y_EN: 0
; COMPUTE_PGM_RSRC2:TGID_Z_EN: 0
; COMPUTE_PGM_RSRC2:TIDIG_COMP_CNT: 0
; COMPUTE_PGM_RSRC3_GFX90A:ACCUM_OFFSET: 8
; COMPUTE_PGM_RSRC3_GFX90A:TG_SPLIT: 0
	.section	.text._Z30block_run_length_decode_kernelIcxLj256ELj9ELj7EEvPKT_PKT0_PS0_PS3_,"axG",@progbits,_Z30block_run_length_decode_kernelIcxLj256ELj9ELj7EEvPKT_PKT0_PS0_PS3_,comdat
	.protected	_Z30block_run_length_decode_kernelIcxLj256ELj9ELj7EEvPKT_PKT0_PS0_PS3_ ; -- Begin function _Z30block_run_length_decode_kernelIcxLj256ELj9ELj7EEvPKT_PKT0_PS0_PS3_
	.globl	_Z30block_run_length_decode_kernelIcxLj256ELj9ELj7EEvPKT_PKT0_PS0_PS3_
	.p2align	8
	.type	_Z30block_run_length_decode_kernelIcxLj256ELj9ELj7EEvPKT_PKT0_PS0_PS3_,@function
_Z30block_run_length_decode_kernelIcxLj256ELj9ELj7EEvPKT_PKT0_PS0_PS3_: ; @_Z30block_run_length_decode_kernelIcxLj256ELj9ELj7EEvPKT_PKT0_PS0_PS3_
; %bb.0:
	s_load_dwordx8 s[8:15], s[4:5], 0x0
	v_lshl_or_b32 v20, s6, 8, v0
	v_lshl_add_u32 v22, v20, 3, v20
	v_mov_b32_e32 v23, 0
	v_lshlrev_b64 v[2:3], 3, v[22:23]
	s_waitcnt lgkmcnt(0)
	v_mov_b32_e32 v1, s11
	v_add_co_u32_e32 v24, vcc, s10, v2
	v_addc_co_u32_e32 v25, vcc, v1, v3, vcc
	global_load_dwordx4 v[10:13], v[24:25], off offset:16
	global_load_dwordx4 v[14:17], v[24:25], off
	global_load_dwordx4 v[6:9], v[24:25], off offset:32
	global_load_dwordx4 v[2:5], v[24:25], off offset:48
	global_load_dword v7, v[24:25], off offset:64
	global_load_ubyte v1, v22, s[8:9] offset:8
	global_load_dwordx2 v[18:19], v22, s[8:9]
	s_waitcnt vmcnt(3)
	v_mbcnt_lo_u32_b32 v3, -1, 0
	v_mbcnt_hi_u32_b32 v3, -1, v3
	v_and_b32_e32 v11, 15, v3
	v_cmp_ne_u32_e32 vcc, 0, v11
	v_bfe_i32 v13, v3, 4, 1
	v_or_b32_e32 v9, 63, v0
	v_lshrrev_b32_e32 v5, 6, v0
	v_add3_u32 v15, v16, v14, v10
	v_add3_u32 v15, v15, v12, v6
	;; [unrolled: 1-line block ×3, first 2 shown]
	s_waitcnt vmcnt(2)
	v_add3_u32 v7, v15, v4, v7
	s_nop 1
	v_mov_b32_dpp v15, v7 row_shr:1 row_mask:0xf bank_mask:0xf
	v_cndmask_b32_e32 v15, 0, v15, vcc
	v_add_u32_e32 v7, v15, v7
	v_cmp_lt_u32_e32 vcc, 1, v11
	s_nop 0
	v_mov_b32_dpp v15, v7 row_shr:2 row_mask:0xf bank_mask:0xf
	v_cndmask_b32_e32 v15, 0, v15, vcc
	v_add_u32_e32 v7, v7, v15
	v_cmp_lt_u32_e32 vcc, 3, v11
	;; [unrolled: 5-line block ×4, first 2 shown]
	s_nop 0
	v_mov_b32_dpp v11, v7 row_bcast:15 row_mask:0xf bank_mask:0xf
	v_and_b32_e32 v11, v13, v11
	v_add_u32_e32 v7, v7, v11
	s_nop 1
	v_mov_b32_dpp v11, v7 row_bcast:31 row_mask:0xf bank_mask:0xf
	v_cndmask_b32_e32 v11, 0, v11, vcc
	v_add_u32_e32 v7, v7, v11
	v_cmp_eq_u32_e32 vcc, v9, v0
	s_and_saveexec_b64 s[0:1], vcc
	s_cbranch_execz .LBB3_2
; %bb.1:
	v_lshlrev_b32_e32 v9, 2, v5
	ds_write_b32 v9, v7
.LBB3_2:
	s_or_b64 exec, exec, s[0:1]
	v_cmp_gt_u32_e32 vcc, 4, v0
	s_waitcnt lgkmcnt(0)
	s_barrier
	s_and_saveexec_b64 s[0:1], vcc
	s_cbranch_execz .LBB3_4
; %bb.3:
	v_lshlrev_b32_e32 v9, 2, v0
	ds_read_b32 v11, v9
	v_and_b32_e32 v13, 3, v3
	v_cmp_ne_u32_e32 vcc, 0, v13
	s_waitcnt lgkmcnt(0)
	v_mov_b32_dpp v15, v11 row_shr:1 row_mask:0xf bank_mask:0xf
	v_cndmask_b32_e32 v15, 0, v15, vcc
	v_add_u32_e32 v11, v15, v11
	v_cmp_lt_u32_e32 vcc, 1, v13
	s_nop 0
	v_mov_b32_dpp v15, v11 row_shr:2 row_mask:0xf bank_mask:0xf
	v_cndmask_b32_e32 v13, 0, v15, vcc
	v_add_u32_e32 v11, v11, v13
	ds_write_b32 v9, v11
.LBB3_4:
	s_or_b64 exec, exec, s[0:1]
	v_cmp_lt_u32_e32 vcc, 63, v0
	v_mov_b32_e32 v9, 0
	v_mov_b32_e32 v11, 0
	s_waitcnt lgkmcnt(0)
	s_barrier
	s_and_saveexec_b64 s[0:1], vcc
	s_cbranch_execz .LBB3_6
; %bb.5:
	v_lshl_add_u32 v5, v5, 2, -4
	ds_read_b32 v11, v5
.LBB3_6:
	s_or_b64 exec, exec, s[0:1]
	s_waitcnt lgkmcnt(0)
	v_add_u32_e32 v5, v11, v7
	v_add_u32_e32 v7, -1, v3
	v_and_b32_e32 v13, 64, v3
	v_cmp_lt_i32_e32 vcc, v7, v13
	v_cndmask_b32_e32 v7, v7, v3, vcc
	v_lshlrev_b32_e32 v7, 2, v7
	ds_bpermute_b32 v5, v7, v5
	v_cmp_eq_u32_e32 vcc, 0, v3
	ds_read_b32 v9, v9 offset:12
	s_waitcnt lgkmcnt(0)
	s_barrier
	v_cndmask_b32_e32 v3, v5, v11, vcc
	v_cmp_ne_u32_e32 vcc, 0, v0
	v_cndmask_b32_e32 v3, 0, v3, vcc
	v_add_u32_e32 v5, v3, v14
	v_add_u32_e32 v7, v5, v16
	;; [unrolled: 1-line block ×4, first 2 shown]
	v_mul_u32_u24_e32 v12, 9, v0
	v_lshlrev_b32_e32 v13, 2, v12
	v_add_u32_e32 v6, v11, v6
	v_add_u32_e32 v14, 0x900, v13
	;; [unrolled: 1-line block ×3, first 2 shown]
	ds_write2_b32 v14, v3, v5 offset1:1
	v_add_u32_e32 v3, 0x908, v13
	v_cmp_eq_u32_e32 vcc, 0, v9
	s_mov_b32 s17, 0
	v_add_u32_e32 v2, v8, v2
	v_readfirstlane_b32 s18, v9
	ds_write2_b32 v3, v7, v10 offset1:1
	v_add_u32_e32 v3, 0x910, v13
	s_and_b64 vcc, exec, vcc
	v_add_u32_e32 v4, v2, v4
	ds_write2_b32 v3, v11, v6 offset1:1
	ds_write_b32 v13, v8 offset:2328
	s_waitcnt vmcnt(0)
	ds_write_b64 v12, v[18:19]
	ds_write_b32 v13, v2 offset:2332
	ds_write_b8 v12, v1 offset:8
	ds_write_b32 v13, v4 offset:2336
	s_waitcnt lgkmcnt(0)
	s_barrier
	s_cbranch_vccnz .LBB3_49
; %bb.7:
	v_mov_b32_e32 v1, 0
	ds_read_b32 v7, v1 offset:6912
	v_mul_lo_u32 v2, v20, 7
	v_mul_u32_u24_e32 v6, 7, v0
	v_mov_b32_e32 v3, v1
	v_mov_b32_e32 v0, s13
	v_add_co_u32_e32 v8, vcc, s12, v2
	v_addc_co_u32_e32 v9, vcc, 0, v0, vcc
	v_lshlrev_b64 v[4:5], 3, v[2:3]
	v_mov_b32_e32 v0, s15
	v_add_co_u32_e32 v3, vcc, s14, v4
	v_add_u32_e32 v10, 1, v2
	v_add_u32_e32 v11, 2, v2
	;; [unrolled: 1-line block ×6, first 2 shown]
	v_addc_co_u32_e32 v16, vcc, v0, v5, vcc
	v_mov_b32_e32 v17, 0x481
	v_mov_b32_e32 v18, 0x900
	;; [unrolled: 1-line block ×5, first 2 shown]
	s_mov_b32 s14, s18
	s_mov_b32 s16, s17
	s_branch .LBB3_9
.LBB3_8:                                ;   in Loop: Header=BB3_9 Depth=1
	s_or_b64 exec, exec, s[0:1]
	s_addk_i32 s16, 0x700
	s_addk_i32 s14, 0xf900
	s_cmp_lt_u32 s16, s18
	s_cbranch_scc0 .LBB3_49
.LBB3_9:                                ; =>This Inner Loop Header: Depth=1
	v_add_u32_e32 v22, s16, v6
	s_waitcnt lgkmcnt(0)
	v_cmp_gt_u32_e32 vcc, v7, v22
	v_cndmask_b32_e32 v4, v20, v21, vcc
	v_lshlrev_b32_e32 v5, 2, v4
	ds_read_b32 v5, v5 offset:2304
	v_cndmask_b32_e64 v0, v17, 0, vcc
	v_cndmask_b32_e32 v23, v18, v19, vcc
	v_or_b32_e32 v24, 1, v4
	s_waitcnt lgkmcnt(0)
	v_cmp_gt_u32_e32 vcc, v5, v22
	v_cndmask_b32_e32 v0, v24, v0, vcc
	v_cndmask_b32_e32 v4, v23, v4, vcc
	v_sub_u32_e32 v5, v4, v0
	v_lshrrev_b16_e32 v23, 15, v5
	v_add_u16_e32 v5, v5, v23
	v_ashrrev_i16_e32 v5, 1, v5
	v_add_u32_sdwa v5, v0, sext(v5) dst_sel:DWORD dst_unused:UNUSED_PAD src0_sel:DWORD src1_sel:WORD_0
	v_min_i32_e32 v5, 0x8ff, v5
	v_lshlrev_b32_e32 v23, 2, v5
	ds_read_b32 v23, v23 offset:2304
	v_add_u32_e32 v24, 1, v5
	s_waitcnt lgkmcnt(0)
	v_cmp_gt_u32_e32 vcc, v23, v22
	v_cndmask_b32_e32 v0, v24, v0, vcc
	v_cndmask_b32_e32 v4, v4, v5, vcc
	v_sub_u32_e32 v5, v4, v0
	v_lshrrev_b16_e32 v23, 15, v5
	v_add_u16_e32 v5, v5, v23
	v_ashrrev_i16_e32 v5, 1, v5
	v_add_u32_sdwa v5, v0, sext(v5) dst_sel:DWORD dst_unused:UNUSED_PAD src0_sel:DWORD src1_sel:WORD_0
	v_min_i32_e32 v5, 0x8ff, v5
	v_lshlrev_b32_e32 v23, 2, v5
	ds_read_b32 v23, v23 offset:2304
	v_add_u32_e32 v24, 1, v5
	;; [unrolled: 13-line block ×7, first 2 shown]
	s_waitcnt lgkmcnt(0)
	v_cmp_gt_u32_e32 vcc, v23, v22
	v_cndmask_b32_e32 v0, v24, v0, vcc
	v_cndmask_b32_e32 v4, v4, v5, vcc
	v_sub_u32_e32 v5, v4, v0
	v_lshrrev_b32_e32 v23, 31, v5
	v_add_u32_e32 v5, v5, v23
	v_ashrrev_i32_e32 v5, 1, v5
	v_add_u32_e32 v5, v5, v0
	v_min_i32_e32 v5, 0x8ff, v5
	v_lshlrev_b32_e32 v23, 2, v5
	ds_read_b32 v23, v23 offset:2304
	v_add_u32_e32 v24, 1, v5
	s_waitcnt lgkmcnt(0)
	v_cmp_gt_u32_e32 vcc, v23, v22
	v_cndmask_b32_e32 v0, v24, v0, vcc
	v_cndmask_b32_e32 v4, v4, v5, vcc
	v_sub_u32_e32 v5, v4, v0
	v_lshrrev_b32_e32 v23, 31, v5
	v_add_u32_e32 v5, v5, v23
	v_ashrrev_i32_e32 v5, 1, v5
	v_add_u32_e32 v5, v5, v0
	v_min_i32_e32 v5, 0x8ff, v5
	v_lshlrev_b32_e32 v23, 2, v5
	ds_read_b32 v23, v23 offset:2304
	v_add_u32_e32 v24, 1, v5
	s_waitcnt lgkmcnt(0)
	v_cmp_gt_u32_e32 vcc, v23, v22
	v_cndmask_b32_e32 v0, v24, v0, vcc
	v_cndmask_b32_e32 v4, v4, v5, vcc
	v_sub_u32_e32 v5, v4, v0
	v_lshrrev_b32_e32 v23, 31, v5
	v_add_u32_e32 v5, v5, v23
	v_ashrrev_i32_e32 v5, 1, v5
	v_add_u32_e32 v5, v5, v0
	v_min_i32_e32 v5, 0x8ff, v5
	v_lshlrev_b32_e32 v23, 2, v5
	ds_read_b32 v23, v23 offset:2304
	v_add_u32_e32 v24, 1, v5
	s_waitcnt lgkmcnt(0)
	v_cmp_gt_u32_e32 vcc, v23, v22
	v_cndmask_b32_e32 v0, v24, v0, vcc
	v_cndmask_b32_e32 v4, v4, v5, vcc
	v_sub_u32_e32 v4, v4, v0
	v_lshrrev_b32_e32 v5, 31, v4
	v_add_u32_e32 v4, v4, v5
	v_ashrrev_i32_e32 v4, 1, v4
	v_add_u32_e32 v4, v4, v0
	v_min_i32_e32 v4, 0x8ff, v4
	v_lshlrev_b32_e32 v5, 2, v4
	ds_read_b32 v5, v5 offset:2304
	v_add_u32_e32 v4, 1, v4
	v_add_u32_e32 v23, 1, v22
	s_waitcnt lgkmcnt(0)
	v_cmp_gt_u32_e32 vcc, v5, v22
	v_cndmask_b32_e32 v32, v4, v0, vcc
	v_lshlrev_b32_e32 v24, 2, v32
	v_add_u32_e32 v0, 0x8fc, v24
	ds_read2_b32 v[4:5], v0 offset1:1
	v_add_u32_e32 v0, -1, v32
	ds_read_u8 v28, v0
	s_waitcnt lgkmcnt(1)
	v_sub_u32_e32 v0, v22, v4
	v_cmp_eq_u32_e32 vcc, v23, v5
	v_mov_b32_e32 v23, v0
	s_waitcnt lgkmcnt(0)
	v_mov_b32_e32 v29, v28
	s_and_saveexec_b64 s[0:1], vcc
	s_cbranch_execz .LBB3_11
; %bb.10:                               ;   in Loop: Header=BB3_9 Depth=1
	ds_read_b32 v4, v24 offset:2308
	ds_read_u8 v29, v32
	v_add_u32_e32 v32, 1, v32
	v_sub_u32_e32 v23, v22, v5
	s_waitcnt lgkmcnt(1)
	v_mov_b32_e32 v5, v4
.LBB3_11:                               ;   in Loop: Header=BB3_9 Depth=1
	s_or_b64 exec, exec, s[0:1]
	v_add_u32_e32 v4, 2, v22
	v_cmp_eq_u32_e32 vcc, v4, v5
	v_mov_b32_e32 v24, v23
	s_waitcnt lgkmcnt(0)
	v_mov_b32_e32 v31, v29
	s_and_saveexec_b64 s[0:1], vcc
	s_cbranch_execz .LBB3_13
; %bb.12:                               ;   in Loop: Header=BB3_9 Depth=1
	v_add_u32_e32 v4, 1, v32
	v_lshlrev_b32_e32 v24, 2, v4
	ds_read_b32 v25, v24 offset:2304
	ds_read_u8 v31, v32
	v_sub_u32_e32 v24, v22, v5
	v_mov_b32_e32 v32, v4
	s_waitcnt lgkmcnt(1)
	v_mov_b32_e32 v5, v25
.LBB3_13:                               ;   in Loop: Header=BB3_9 Depth=1
	s_or_b64 exec, exec, s[0:1]
	v_add_u32_e32 v4, 3, v22
	v_cmp_eq_u32_e32 vcc, v4, v5
	v_mov_b32_e32 v25, v24
	s_waitcnt lgkmcnt(0)
	v_mov_b32_e32 v33, v31
	s_and_saveexec_b64 s[0:1], vcc
	s_cbranch_execz .LBB3_15
; %bb.14:                               ;   in Loop: Header=BB3_9 Depth=1
	v_lshl_add_u32 v4, v32, 2, v18
	ds_read2_b32 v[4:5], v4 offset1:1
	ds_read_u8 v33, v32
	v_add_u32_e32 v32, 1, v32
	s_waitcnt lgkmcnt(1)
	v_sub_u32_e32 v25, v22, v4
.LBB3_15:                               ;   in Loop: Header=BB3_9 Depth=1
	s_or_b64 exec, exec, s[0:1]
	v_add_u32_e32 v4, 4, v22
	v_cmp_eq_u32_e32 vcc, v4, v5
	v_mov_b32_e32 v26, v25
	s_waitcnt lgkmcnt(0)
	v_mov_b32_e32 v34, v33
	s_and_saveexec_b64 s[0:1], vcc
	s_cbranch_execz .LBB3_17
; %bb.16:                               ;   in Loop: Header=BB3_9 Depth=1
	v_lshl_add_u32 v4, v32, 2, v18
	ds_read2_b32 v[4:5], v4 offset1:1
	ds_read_u8 v34, v32
	v_add_u32_e32 v32, 1, v32
	s_waitcnt lgkmcnt(1)
	v_sub_u32_e32 v26, v22, v4
.LBB3_17:                               ;   in Loop: Header=BB3_9 Depth=1
	;; [unrolled: 16-line block ×3, first 2 shown]
	s_or_b64 exec, exec, s[0:1]
	v_add_u32_e32 v4, 6, v22
	v_cmp_eq_u32_e32 vcc, v4, v5
	v_mov_b32_e32 v30, v27
	s_waitcnt lgkmcnt(0)
	v_mov_b32_e32 v36, v35
	s_and_saveexec_b64 s[0:1], vcc
	s_cbranch_execz .LBB3_21
; %bb.20:                               ;   in Loop: Header=BB3_9 Depth=1
	v_lshlrev_b32_e32 v4, 2, v32
	ds_read_b32 v4, v4 offset:2304
	ds_read_u8 v36, v32
	s_waitcnt lgkmcnt(1)
	v_sub_u32_e32 v30, v22, v4
.LBB3_21:                               ;   in Loop: Header=BB3_9 Depth=1
	s_or_b64 exec, exec, s[0:1]
	s_min_u32 s15, s14, 0x700
	v_add_co_u32_e32 v4, vcc, s16, v8
	v_addc_co_u32_e32 v5, vcc, 0, v9, vcc
	v_cmp_gt_u32_e64 s[10:11], s15, v2
	s_and_saveexec_b64 s[0:1], s[10:11]
	s_cbranch_execnz .LBB3_36
; %bb.22:                               ;   in Loop: Header=BB3_9 Depth=1
	s_or_b64 exec, exec, s[0:1]
	v_cmp_gt_u32_e64 s[8:9], s15, v10
	s_and_saveexec_b64 s[0:1], s[8:9]
	s_cbranch_execnz .LBB3_37
.LBB3_23:                               ;   in Loop: Header=BB3_9 Depth=1
	s_or_b64 exec, exec, s[0:1]
	v_cmp_gt_u32_e64 s[6:7], s15, v11
	s_and_saveexec_b64 s[0:1], s[6:7]
	s_cbranch_execnz .LBB3_38
.LBB3_24:                               ;   in Loop: Header=BB3_9 Depth=1
	s_or_b64 exec, exec, s[0:1]
	v_cmp_gt_u32_e64 s[4:5], s15, v12
	s_and_saveexec_b64 s[0:1], s[4:5]
	s_cbranch_execnz .LBB3_39
.LBB3_25:                               ;   in Loop: Header=BB3_9 Depth=1
	s_or_b64 exec, exec, s[0:1]
	v_cmp_gt_u32_e64 s[2:3], s15, v13
	s_and_saveexec_b64 s[0:1], s[2:3]
	s_cbranch_execnz .LBB3_40
.LBB3_26:                               ;   in Loop: Header=BB3_9 Depth=1
	s_or_b64 exec, exec, s[0:1]
	v_cmp_gt_u32_e64 s[0:1], s15, v14
	s_and_saveexec_b64 s[12:13], s[0:1]
	s_cbranch_execnz .LBB3_41
.LBB3_27:                               ;   in Loop: Header=BB3_9 Depth=1
	s_or_b64 exec, exec, s[12:13]
	v_cmp_gt_u32_e32 vcc, s15, v15
	s_and_saveexec_b64 s[12:13], vcc
	s_cbranch_execz .LBB3_29
.LBB3_28:                               ;   in Loop: Header=BB3_9 Depth=1
	s_waitcnt lgkmcnt(0)
	global_store_byte v[4:5], v36, off offset:6
.LBB3_29:                               ;   in Loop: Header=BB3_9 Depth=1
	s_or_b64 exec, exec, s[12:13]
	s_lshl_b64 s[12:13], s[16:17], 3
	v_mov_b32_e32 v5, s13
	v_add_co_u32_e64 v4, s[12:13], s12, v3
	v_addc_co_u32_e64 v5, s[12:13], v16, v5, s[12:13]
	s_and_saveexec_b64 s[12:13], s[10:11]
	s_cbranch_execnz .LBB3_42
; %bb.30:                               ;   in Loop: Header=BB3_9 Depth=1
	s_or_b64 exec, exec, s[12:13]
	s_and_saveexec_b64 s[10:11], s[8:9]
	s_cbranch_execnz .LBB3_43
.LBB3_31:                               ;   in Loop: Header=BB3_9 Depth=1
	s_or_b64 exec, exec, s[10:11]
	s_and_saveexec_b64 s[8:9], s[6:7]
	s_cbranch_execnz .LBB3_44
.LBB3_32:                               ;   in Loop: Header=BB3_9 Depth=1
	s_or_b64 exec, exec, s[8:9]
	s_and_saveexec_b64 s[6:7], s[4:5]
	s_cbranch_execnz .LBB3_45
.LBB3_33:                               ;   in Loop: Header=BB3_9 Depth=1
	s_or_b64 exec, exec, s[6:7]
	s_and_saveexec_b64 s[4:5], s[2:3]
	s_cbranch_execnz .LBB3_46
.LBB3_34:                               ;   in Loop: Header=BB3_9 Depth=1
	s_or_b64 exec, exec, s[4:5]
	s_and_saveexec_b64 s[2:3], s[0:1]
	s_cbranch_execnz .LBB3_47
.LBB3_35:                               ;   in Loop: Header=BB3_9 Depth=1
	s_or_b64 exec, exec, s[2:3]
	s_and_saveexec_b64 s[0:1], vcc
	s_cbranch_execz .LBB3_8
	s_branch .LBB3_48
.LBB3_36:                               ;   in Loop: Header=BB3_9 Depth=1
	global_store_byte v[4:5], v28, off
	s_or_b64 exec, exec, s[0:1]
	v_cmp_gt_u32_e64 s[8:9], s15, v10
	s_and_saveexec_b64 s[0:1], s[8:9]
	s_cbranch_execz .LBB3_23
.LBB3_37:                               ;   in Loop: Header=BB3_9 Depth=1
	global_store_byte v[4:5], v29, off offset:1
	s_or_b64 exec, exec, s[0:1]
	v_cmp_gt_u32_e64 s[6:7], s15, v11
	s_and_saveexec_b64 s[0:1], s[6:7]
	s_cbranch_execz .LBB3_24
.LBB3_38:                               ;   in Loop: Header=BB3_9 Depth=1
	global_store_byte v[4:5], v31, off offset:2
	s_or_b64 exec, exec, s[0:1]
	v_cmp_gt_u32_e64 s[4:5], s15, v12
	s_and_saveexec_b64 s[0:1], s[4:5]
	s_cbranch_execz .LBB3_25
.LBB3_39:                               ;   in Loop: Header=BB3_9 Depth=1
	global_store_byte v[4:5], v33, off offset:3
	s_or_b64 exec, exec, s[0:1]
	v_cmp_gt_u32_e64 s[2:3], s15, v13
	s_and_saveexec_b64 s[0:1], s[2:3]
	s_cbranch_execz .LBB3_26
.LBB3_40:                               ;   in Loop: Header=BB3_9 Depth=1
	global_store_byte v[4:5], v34, off offset:4
	s_or_b64 exec, exec, s[0:1]
	v_cmp_gt_u32_e64 s[0:1], s15, v14
	s_and_saveexec_b64 s[12:13], s[0:1]
	s_cbranch_execz .LBB3_27
.LBB3_41:                               ;   in Loop: Header=BB3_9 Depth=1
	global_store_byte v[4:5], v35, off offset:5
	s_or_b64 exec, exec, s[12:13]
	v_cmp_gt_u32_e32 vcc, s15, v15
	s_and_saveexec_b64 s[12:13], vcc
	s_cbranch_execnz .LBB3_28
	s_branch .LBB3_29
.LBB3_42:                               ;   in Loop: Header=BB3_9 Depth=1
	global_store_dwordx2 v[4:5], v[0:1], off
	s_or_b64 exec, exec, s[12:13]
	s_and_saveexec_b64 s[10:11], s[8:9]
	s_cbranch_execz .LBB3_31
.LBB3_43:                               ;   in Loop: Header=BB3_9 Depth=1
	v_add_u32_e32 v0, 1, v23
	global_store_dwordx2 v[4:5], v[0:1], off offset:8
	s_or_b64 exec, exec, s[10:11]
	s_and_saveexec_b64 s[8:9], s[6:7]
	s_cbranch_execz .LBB3_32
.LBB3_44:                               ;   in Loop: Header=BB3_9 Depth=1
	v_add_u32_e32 v0, 2, v24
	global_store_dwordx2 v[4:5], v[0:1], off offset:16
	s_or_b64 exec, exec, s[8:9]
	s_and_saveexec_b64 s[6:7], s[4:5]
	s_cbranch_execz .LBB3_33
.LBB3_45:                               ;   in Loop: Header=BB3_9 Depth=1
	v_add_u32_e32 v0, 3, v25
	global_store_dwordx2 v[4:5], v[0:1], off offset:24
	s_or_b64 exec, exec, s[6:7]
	s_and_saveexec_b64 s[4:5], s[2:3]
	s_cbranch_execz .LBB3_34
.LBB3_46:                               ;   in Loop: Header=BB3_9 Depth=1
	v_add_u32_e32 v0, 4, v26
	global_store_dwordx2 v[4:5], v[0:1], off offset:32
	s_or_b64 exec, exec, s[4:5]
	s_and_saveexec_b64 s[2:3], s[0:1]
	s_cbranch_execz .LBB3_35
.LBB3_47:                               ;   in Loop: Header=BB3_9 Depth=1
	v_add_u32_e32 v0, 5, v27
	global_store_dwordx2 v[4:5], v[0:1], off offset:40
	s_or_b64 exec, exec, s[2:3]
	s_and_saveexec_b64 s[0:1], vcc
	s_cbranch_execz .LBB3_8
.LBB3_48:                               ;   in Loop: Header=BB3_9 Depth=1
	v_add_u32_e32 v0, 6, v30
	global_store_dwordx2 v[4:5], v[0:1], off offset:48
	s_branch .LBB3_8
.LBB3_49:
	s_endpgm
	.section	.rodata,"a",@progbits
	.p2align	6, 0x0
	.amdhsa_kernel _Z30block_run_length_decode_kernelIcxLj256ELj9ELj7EEvPKT_PKT0_PS0_PS3_
		.amdhsa_group_segment_fixed_size 11520
		.amdhsa_private_segment_fixed_size 0
		.amdhsa_kernarg_size 32
		.amdhsa_user_sgpr_count 6
		.amdhsa_user_sgpr_private_segment_buffer 1
		.amdhsa_user_sgpr_dispatch_ptr 0
		.amdhsa_user_sgpr_queue_ptr 0
		.amdhsa_user_sgpr_kernarg_segment_ptr 1
		.amdhsa_user_sgpr_dispatch_id 0
		.amdhsa_user_sgpr_flat_scratch_init 0
		.amdhsa_user_sgpr_kernarg_preload_length 0
		.amdhsa_user_sgpr_kernarg_preload_offset 0
		.amdhsa_user_sgpr_private_segment_size 0
		.amdhsa_uses_dynamic_stack 0
		.amdhsa_system_sgpr_private_segment_wavefront_offset 0
		.amdhsa_system_sgpr_workgroup_id_x 1
		.amdhsa_system_sgpr_workgroup_id_y 0
		.amdhsa_system_sgpr_workgroup_id_z 0
		.amdhsa_system_sgpr_workgroup_info 0
		.amdhsa_system_vgpr_workitem_id 0
		.amdhsa_next_free_vgpr 37
		.amdhsa_next_free_sgpr 19
		.amdhsa_accum_offset 40
		.amdhsa_reserve_vcc 1
		.amdhsa_reserve_flat_scratch 0
		.amdhsa_float_round_mode_32 0
		.amdhsa_float_round_mode_16_64 0
		.amdhsa_float_denorm_mode_32 3
		.amdhsa_float_denorm_mode_16_64 3
		.amdhsa_dx10_clamp 1
		.amdhsa_ieee_mode 1
		.amdhsa_fp16_overflow 0
		.amdhsa_tg_split 0
		.amdhsa_exception_fp_ieee_invalid_op 0
		.amdhsa_exception_fp_denorm_src 0
		.amdhsa_exception_fp_ieee_div_zero 0
		.amdhsa_exception_fp_ieee_overflow 0
		.amdhsa_exception_fp_ieee_underflow 0
		.amdhsa_exception_fp_ieee_inexact 0
		.amdhsa_exception_int_div_zero 0
	.end_amdhsa_kernel
	.section	.text._Z30block_run_length_decode_kernelIcxLj256ELj9ELj7EEvPKT_PKT0_PS0_PS3_,"axG",@progbits,_Z30block_run_length_decode_kernelIcxLj256ELj9ELj7EEvPKT_PKT0_PS0_PS3_,comdat
.Lfunc_end3:
	.size	_Z30block_run_length_decode_kernelIcxLj256ELj9ELj7EEvPKT_PKT0_PS0_PS3_, .Lfunc_end3-_Z30block_run_length_decode_kernelIcxLj256ELj9ELj7EEvPKT_PKT0_PS0_PS3_
                                        ; -- End function
	.section	.AMDGPU.csdata,"",@progbits
; Kernel info:
; codeLenInByte = 2664
; NumSgprs: 23
; NumVgprs: 37
; NumAgprs: 0
; TotalNumVgprs: 37
; ScratchSize: 0
; MemoryBound: 0
; FloatMode: 240
; IeeeMode: 1
; LDSByteSize: 11520 bytes/workgroup (compile time only)
; SGPRBlocks: 2
; VGPRBlocks: 4
; NumSGPRsForWavesPerEU: 23
; NumVGPRsForWavesPerEU: 37
; AccumOffset: 40
; Occupancy: 5
; WaveLimiterHint : 0
; COMPUTE_PGM_RSRC2:SCRATCH_EN: 0
; COMPUTE_PGM_RSRC2:USER_SGPR: 6
; COMPUTE_PGM_RSRC2:TRAP_HANDLER: 0
; COMPUTE_PGM_RSRC2:TGID_X_EN: 1
; COMPUTE_PGM_RSRC2:TGID_Y_EN: 0
; COMPUTE_PGM_RSRC2:TGID_Z_EN: 0
; COMPUTE_PGM_RSRC2:TIDIG_COMP_CNT: 0
; COMPUTE_PGM_RSRC3_GFX90A:ACCUM_OFFSET: 9
; COMPUTE_PGM_RSRC3_GFX90A:TG_SPLIT: 0
	.section	.text._Z30block_run_length_decode_kernelIdcLj256ELj9ELj7EEvPKT_PKT0_PS0_PS3_,"axG",@progbits,_Z30block_run_length_decode_kernelIdcLj256ELj9ELj7EEvPKT_PKT0_PS0_PS3_,comdat
	.protected	_Z30block_run_length_decode_kernelIdcLj256ELj9ELj7EEvPKT_PKT0_PS0_PS3_ ; -- Begin function _Z30block_run_length_decode_kernelIdcLj256ELj9ELj7EEvPKT_PKT0_PS0_PS3_
	.globl	_Z30block_run_length_decode_kernelIdcLj256ELj9ELj7EEvPKT_PKT0_PS0_PS3_
	.p2align	8
	.type	_Z30block_run_length_decode_kernelIdcLj256ELj9ELj7EEvPKT_PKT0_PS0_PS3_,@function
_Z30block_run_length_decode_kernelIdcLj256ELj9ELj7EEvPKT_PKT0_PS0_PS3_: ; @_Z30block_run_length_decode_kernelIdcLj256ELj9ELj7EEvPKT_PKT0_PS0_PS3_
; %bb.0:
	s_load_dwordx8 s[8:15], s[4:5], 0x0
	v_lshl_or_b32 v22, s6, 8, v0
	v_lshl_add_u32 v2, v22, 3, v22
	v_mov_b32_e32 v3, 0
	v_or_b32_e32 v32, 63, v0
	s_waitcnt lgkmcnt(0)
	global_load_dwordx2 v[28:29], v2, s[10:11]
	global_load_sbyte v31, v2, s[10:11] offset:8
	v_lshlrev_b64 v[2:3], 3, v[2:3]
	v_mov_b32_e32 v1, s9
	v_add_co_u32_e32 v20, vcc, s8, v2
	v_addc_co_u32_e32 v21, vcc, v1, v3, vcc
	global_load_dwordx4 v[2:5], v[20:21], off offset:48
	global_load_dwordx4 v[6:9], v[20:21], off offset:32
	;; [unrolled: 1-line block ×3, first 2 shown]
	global_load_dwordx4 v[14:17], v[20:21], off
	global_load_dwordx2 v[18:19], v[20:21], off offset:64
	v_mbcnt_lo_u32_b32 v1, -1, 0
	v_mbcnt_hi_u32_b32 v1, -1, v1
	v_and_b32_e32 v33, 15, v1
	v_cmp_ne_u32_e32 vcc, 0, v33
	v_bfe_i32 v34, v1, 4, 1
	v_lshrrev_b32_e32 v30, 6, v0
	s_waitcnt vmcnt(6)
	v_bfe_i32 v25, v28, 0, 8
	v_bfe_i32 v26, v28, 8, 8
	;; [unrolled: 1-line block ×3, first 2 shown]
	v_ashrrev_i32_e32 v28, 24, v28
	v_bfe_i32 v20, v29, 0, 8
	v_bfe_i32 v21, v29, 8, 8
	;; [unrolled: 1-line block ×3, first 2 shown]
	v_ashrrev_i32_e32 v24, 24, v29
	v_add3_u32 v29, v26, v25, v27
	v_add3_u32 v29, v29, v28, v20
	v_add3_u32 v29, v29, v21, v23
	s_waitcnt vmcnt(5)
	v_add3_u32 v29, v29, v24, v31
	s_nop 1
	v_mov_b32_dpp v31, v29 row_shr:1 row_mask:0xf bank_mask:0xf
	v_cndmask_b32_e32 v31, 0, v31, vcc
	v_add_u32_e32 v29, v31, v29
	v_cmp_lt_u32_e32 vcc, 1, v33
	s_nop 0
	v_mov_b32_dpp v31, v29 row_shr:2 row_mask:0xf bank_mask:0xf
	v_cndmask_b32_e32 v31, 0, v31, vcc
	v_add_u32_e32 v29, v29, v31
	v_cmp_lt_u32_e32 vcc, 3, v33
	;; [unrolled: 5-line block ×4, first 2 shown]
	s_nop 0
	v_mov_b32_dpp v31, v29 row_bcast:15 row_mask:0xf bank_mask:0xf
	v_and_b32_e32 v31, v34, v31
	v_add_u32_e32 v29, v29, v31
	s_nop 1
	v_mov_b32_dpp v31, v29 row_bcast:31 row_mask:0xf bank_mask:0xf
	v_cndmask_b32_e32 v31, 0, v31, vcc
	v_add_u32_e32 v29, v29, v31
	v_cmp_eq_u32_e32 vcc, v32, v0
	s_and_saveexec_b64 s[0:1], vcc
	s_cbranch_execz .LBB4_2
; %bb.1:
	v_lshlrev_b32_e32 v31, 2, v30
	ds_write_b32 v31, v29
.LBB4_2:
	s_or_b64 exec, exec, s[0:1]
	v_cmp_gt_u32_e32 vcc, 4, v0
	s_waitcnt lgkmcnt(0)
	s_barrier
	s_and_saveexec_b64 s[0:1], vcc
	s_cbranch_execz .LBB4_4
; %bb.3:
	v_lshlrev_b32_e32 v31, 2, v0
	ds_read_b32 v32, v31
	v_and_b32_e32 v33, 3, v1
	v_cmp_ne_u32_e32 vcc, 0, v33
	s_waitcnt lgkmcnt(0)
	v_mov_b32_dpp v34, v32 row_shr:1 row_mask:0xf bank_mask:0xf
	v_cndmask_b32_e32 v34, 0, v34, vcc
	v_add_u32_e32 v32, v34, v32
	v_cmp_lt_u32_e32 vcc, 1, v33
	s_nop 0
	v_mov_b32_dpp v34, v32 row_shr:2 row_mask:0xf bank_mask:0xf
	v_cndmask_b32_e32 v33, 0, v34, vcc
	v_add_u32_e32 v32, v32, v33
	ds_write_b32 v31, v32
.LBB4_4:
	s_or_b64 exec, exec, s[0:1]
	v_cmp_lt_u32_e32 vcc, 63, v0
	v_mov_b32_e32 v31, 0
	v_mov_b32_e32 v32, 0
	s_waitcnt lgkmcnt(0)
	s_barrier
	s_and_saveexec_b64 s[0:1], vcc
	s_cbranch_execz .LBB4_6
; %bb.5:
	v_lshl_add_u32 v30, v30, 2, -4
	ds_read_b32 v32, v30
.LBB4_6:
	s_or_b64 exec, exec, s[0:1]
	v_add_u32_e32 v30, -1, v1
	v_and_b32_e32 v33, 64, v1
	v_cmp_lt_i32_e32 vcc, v30, v33
	v_cndmask_b32_e32 v30, v30, v1, vcc
	s_waitcnt lgkmcnt(0)
	v_add_u32_e32 v29, v32, v29
	v_lshlrev_b32_e32 v30, 2, v30
	ds_bpermute_b32 v29, v30, v29
	v_cmp_eq_u32_e32 vcc, 0, v1
	v_mul_u32_u24_e32 v30, 9, v0
	s_mov_b32 s17, 0
	s_waitcnt lgkmcnt(0)
	v_cndmask_b32_e32 v1, v29, v32, vcc
	v_cmp_ne_u32_e32 vcc, 0, v0
	v_cndmask_b32_e32 v1, 0, v1, vcc
	v_add_u32_e32 v25, v1, v25
	ds_read_b32 v29, v31 offset:12
	v_add_u32_e32 v26, v25, v26
	v_add_u32_e32 v27, v26, v27
	;; [unrolled: 1-line block ×5, first 2 shown]
	v_lshlrev_b32_e32 v31, 3, v30
	s_waitcnt lgkmcnt(0)
	v_cmp_eq_u32_e32 vcc, 0, v29
	v_add_u32_e32 v23, v21, v23
	v_readfirstlane_b32 s18, v29
	s_barrier
	s_waitcnt vmcnt(1)
	ds_write_b64 v31, v[14:15]
	v_lshlrev_b32_e32 v14, 2, v30
	s_and_b64 vcc, exec, vcc
	v_add_u32_e32 v24, v23, v24
	ds_write_b32 v14, v1 offset:18432
	ds_write_b64 v31, v[16:17] offset:8
	ds_write_b32 v14, v25 offset:18436
	ds_write_b64 v31, v[10:11] offset:16
	;; [unrolled: 2-line block ×7, first 2 shown]
	ds_write_b32 v14, v23 offset:18460
	s_waitcnt vmcnt(0)
	ds_write_b64 v31, v[18:19] offset:64
	ds_write_b32 v14, v24 offset:18464
	s_waitcnt lgkmcnt(0)
	s_barrier
	s_cbranch_vccnz .LBB4_49
; %bb.7:
	v_mul_u32_u24_e32 v20, 7, v0
	v_mov_b32_e32 v1, 0
	v_mul_lo_u32 v0, v22, 7
	ds_read_b32 v21, v1 offset:23040
	v_lshlrev_b64 v[2:3], 3, v[0:1]
	v_mov_b32_e32 v4, s13
	v_add_co_u32_e32 v1, vcc, s12, v2
	v_addc_co_u32_e32 v22, vcc, v4, v3, vcc
	v_mov_b32_e32 v2, s15
	v_add_co_u32_e32 v29, vcc, s14, v0
	v_add_u32_e32 v23, 1, v0
	v_add_u32_e32 v24, 2, v0
	;; [unrolled: 1-line block ×6, first 2 shown]
	v_addc_co_u32_e32 v30, vcc, 0, v2, vcc
	v_mov_b32_e32 v31, 0x481
	v_mov_b32_e32 v32, 0x900
	;; [unrolled: 1-line block ×6, first 2 shown]
	s_mov_b32 s14, s18
	s_mov_b32 s16, s17
	s_branch .LBB4_9
.LBB4_8:                                ;   in Loop: Header=BB4_9 Depth=1
	s_or_b64 exec, exec, s[0:1]
	s_addk_i32 s16, 0x700
	s_addk_i32 s14, 0xf900
	s_cmp_lt_u32 s16, s18
	s_cbranch_scc0 .LBB4_49
.LBB4_9:                                ; =>This Inner Loop Header: Depth=1
	v_add_u32_e32 v18, s16, v20
	s_waitcnt lgkmcnt(0)
	v_cmp_gt_u32_e32 vcc, v21, v18
	v_cndmask_b32_e32 v3, v34, v35, vcc
	v_lshlrev_b32_e32 v4, 2, v3
	ds_read_b32 v4, v4 offset:18432
	v_cndmask_b32_e64 v2, v31, 0, vcc
	v_cndmask_b32_e32 v5, v32, v33, vcc
	v_or_b32_e32 v6, 1, v3
	s_waitcnt lgkmcnt(0)
	v_cmp_gt_u32_e32 vcc, v4, v18
	v_cndmask_b32_e32 v2, v6, v2, vcc
	v_cndmask_b32_e32 v3, v5, v3, vcc
	v_sub_u32_e32 v4, v3, v2
	v_lshrrev_b16_e32 v5, 15, v4
	v_add_u16_e32 v4, v4, v5
	v_ashrrev_i16_e32 v4, 1, v4
	v_add_u32_sdwa v4, v2, sext(v4) dst_sel:DWORD dst_unused:UNUSED_PAD src0_sel:DWORD src1_sel:WORD_0
	v_min_i32_e32 v4, 0x8ff, v4
	v_lshlrev_b32_e32 v5, 2, v4
	ds_read_b32 v5, v5 offset:18432
	v_add_u32_e32 v6, 1, v4
	s_waitcnt lgkmcnt(0)
	v_cmp_gt_u32_e32 vcc, v5, v18
	v_cndmask_b32_e32 v2, v6, v2, vcc
	v_cndmask_b32_e32 v3, v3, v4, vcc
	v_sub_u32_e32 v4, v3, v2
	v_lshrrev_b16_e32 v5, 15, v4
	v_add_u16_e32 v4, v4, v5
	v_ashrrev_i16_e32 v4, 1, v4
	v_add_u32_sdwa v4, v2, sext(v4) dst_sel:DWORD dst_unused:UNUSED_PAD src0_sel:DWORD src1_sel:WORD_0
	v_min_i32_e32 v4, 0x8ff, v4
	v_lshlrev_b32_e32 v5, 2, v4
	ds_read_b32 v5, v5 offset:18432
	v_add_u32_e32 v6, 1, v4
	;; [unrolled: 13-line block ×7, first 2 shown]
	s_waitcnt lgkmcnt(0)
	v_cmp_gt_u32_e32 vcc, v5, v18
	v_cndmask_b32_e32 v2, v6, v2, vcc
	v_cndmask_b32_e32 v3, v3, v4, vcc
	v_sub_u32_e32 v4, v3, v2
	v_lshrrev_b32_e32 v5, 31, v4
	v_add_u32_e32 v4, v4, v5
	v_ashrrev_i32_e32 v4, 1, v4
	v_add_u32_e32 v4, v4, v2
	v_min_i32_e32 v4, 0x8ff, v4
	v_lshlrev_b32_e32 v5, 2, v4
	ds_read_b32 v5, v5 offset:18432
	v_add_u32_e32 v6, 1, v4
	s_waitcnt lgkmcnt(0)
	v_cmp_gt_u32_e32 vcc, v5, v18
	v_cndmask_b32_e32 v2, v6, v2, vcc
	v_cndmask_b32_e32 v3, v3, v4, vcc
	v_sub_u32_e32 v4, v3, v2
	v_lshrrev_b32_e32 v5, 31, v4
	v_add_u32_e32 v4, v4, v5
	v_ashrrev_i32_e32 v4, 1, v4
	v_add_u32_e32 v4, v4, v2
	v_min_i32_e32 v4, 0x8ff, v4
	v_lshlrev_b32_e32 v5, 2, v4
	ds_read_b32 v5, v5 offset:18432
	v_add_u32_e32 v6, 1, v4
	;; [unrolled: 13-line block ×4, first 2 shown]
	v_add_u32_e32 v6, 1, v18
	s_waitcnt lgkmcnt(0)
	v_cmp_gt_u32_e32 vcc, v4, v18
	v_cndmask_b32_e32 v19, v3, v2, vcc
	v_lshlrev_b32_e32 v8, 2, v19
	v_add_u32_e32 v2, 0x47fc, v8
	v_lshl_add_u32 v4, v19, 3, -8
	ds_read2_b32 v[2:3], v2 offset1:1
	ds_read_b64 v[4:5], v4
	s_waitcnt lgkmcnt(1)
	v_cmp_eq_u32_e32 vcc, v6, v3
	v_mov_b32_e32 v9, v2
	s_waitcnt lgkmcnt(0)
	v_pk_mov_b32 v[6:7], v[4:5], v[4:5] op_sel:[0,1]
	s_and_saveexec_b64 s[0:1], vcc
	s_cbranch_execz .LBB4_11
; %bb.10:                               ;   in Loop: Header=BB4_9 Depth=1
	v_lshlrev_b32_e32 v6, 3, v19
	ds_read_b32 v8, v8 offset:18436
	ds_read_b64 v[6:7], v6
	v_add_u32_e32 v19, 1, v19
	v_mov_b32_e32 v9, v3
	s_waitcnt lgkmcnt(1)
	v_mov_b32_e32 v3, v8
.LBB4_11:                               ;   in Loop: Header=BB4_9 Depth=1
	s_or_b64 exec, exec, s[0:1]
	v_sub_u32_e32 v37, v18, v9
	v_add_u32_e32 v8, 2, v18
	v_cmp_eq_u32_e32 vcc, v8, v3
	v_mov_b32_e32 v38, v37
	s_waitcnt lgkmcnt(0)
	v_pk_mov_b32 v[8:9], v[6:7], v[6:7] op_sel:[0,1]
	s_and_saveexec_b64 s[0:1], vcc
	s_cbranch_execz .LBB4_13
; %bb.12:                               ;   in Loop: Header=BB4_9 Depth=1
	v_add_u32_e32 v10, 1, v19
	v_lshlrev_b32_e32 v8, 2, v10
	v_lshlrev_b32_e32 v9, 3, v19
	ds_read_b32 v11, v8 offset:18432
	ds_read_b64 v[8:9], v9
	v_sub_u32_e32 v38, v18, v3
	v_mov_b32_e32 v19, v10
	s_waitcnt lgkmcnt(1)
	v_mov_b32_e32 v3, v11
.LBB4_13:                               ;   in Loop: Header=BB4_9 Depth=1
	s_or_b64 exec, exec, s[0:1]
	v_add_u32_e32 v10, 3, v18
	v_cmp_eq_u32_e32 vcc, v10, v3
	v_mov_b32_e32 v39, v38
	s_waitcnt lgkmcnt(0)
	v_pk_mov_b32 v[10:11], v[8:9], v[8:9] op_sel:[0,1]
	s_and_saveexec_b64 s[0:1], vcc
	s_cbranch_execz .LBB4_15
; %bb.14:                               ;   in Loop: Header=BB4_9 Depth=1
	v_lshl_add_u32 v3, v19, 2, v36
	ds_read2_b32 v[12:13], v3 offset1:1
	v_lshlrev_b32_e32 v3, 3, v19
	ds_read_b64 v[10:11], v3
	v_add_u32_e32 v19, 1, v19
	s_waitcnt lgkmcnt(1)
	v_sub_u32_e32 v39, v18, v12
	v_mov_b32_e32 v3, v13
.LBB4_15:                               ;   in Loop: Header=BB4_9 Depth=1
	s_or_b64 exec, exec, s[0:1]
	v_add_u32_e32 v12, 4, v18
	v_cmp_eq_u32_e32 vcc, v12, v3
	v_mov_b32_e32 v40, v39
	s_waitcnt lgkmcnt(0)
	v_pk_mov_b32 v[12:13], v[10:11], v[10:11] op_sel:[0,1]
	s_and_saveexec_b64 s[0:1], vcc
	s_cbranch_execz .LBB4_17
; %bb.16:                               ;   in Loop: Header=BB4_9 Depth=1
	v_lshl_add_u32 v3, v19, 2, v36
	ds_read2_b32 v[14:15], v3 offset1:1
	v_lshlrev_b32_e32 v3, 3, v19
	ds_read_b64 v[12:13], v3
	v_add_u32_e32 v19, 1, v19
	s_waitcnt lgkmcnt(1)
	v_sub_u32_e32 v40, v18, v14
	v_mov_b32_e32 v3, v15
.LBB4_17:                               ;   in Loop: Header=BB4_9 Depth=1
	;; [unrolled: 18-line block ×3, first 2 shown]
	s_or_b64 exec, exec, s[0:1]
	v_add_u32_e32 v16, 6, v18
	v_cmp_eq_u32_e32 vcc, v16, v3
	v_mov_b32_e32 v3, v41
	s_waitcnt lgkmcnt(0)
	v_pk_mov_b32 v[16:17], v[14:15], v[14:15] op_sel:[0,1]
	s_and_saveexec_b64 s[0:1], vcc
	s_cbranch_execz .LBB4_21
; %bb.20:                               ;   in Loop: Header=BB4_9 Depth=1
	v_lshlrev_b32_e32 v3, 2, v19
	v_lshlrev_b32_e32 v16, 3, v19
	ds_read_b32 v3, v3 offset:18432
	ds_read_b64 v[16:17], v16
	s_waitcnt lgkmcnt(1)
	v_sub_u32_e32 v3, v18, v3
.LBB4_21:                               ;   in Loop: Header=BB4_9 Depth=1
	s_or_b64 exec, exec, s[0:1]
	s_lshl_b64 s[0:1], s[16:17], 3
	v_mov_b32_e32 v19, s1
	v_add_co_u32_e32 v18, vcc, s0, v1
	s_min_u32 s12, s14, 0x700
	v_addc_co_u32_e32 v19, vcc, v22, v19, vcc
	v_cmp_gt_u32_e32 vcc, s12, v0
	s_and_saveexec_b64 s[0:1], vcc
	s_cbranch_execnz .LBB4_36
; %bb.22:                               ;   in Loop: Header=BB4_9 Depth=1
	s_or_b64 exec, exec, s[0:1]
	v_cmp_gt_u32_e64 s[0:1], s12, v23
	s_and_saveexec_b64 s[2:3], s[0:1]
	s_cbranch_execnz .LBB4_37
.LBB4_23:                               ;   in Loop: Header=BB4_9 Depth=1
	s_or_b64 exec, exec, s[2:3]
	v_cmp_gt_u32_e64 s[2:3], s12, v24
	s_and_saveexec_b64 s[4:5], s[2:3]
	s_cbranch_execnz .LBB4_38
.LBB4_24:                               ;   in Loop: Header=BB4_9 Depth=1
	s_or_b64 exec, exec, s[4:5]
	v_cmp_gt_u32_e64 s[4:5], s12, v25
	s_and_saveexec_b64 s[6:7], s[4:5]
	s_cbranch_execnz .LBB4_39
.LBB4_25:                               ;   in Loop: Header=BB4_9 Depth=1
	s_or_b64 exec, exec, s[6:7]
	v_cmp_gt_u32_e64 s[6:7], s12, v26
	s_and_saveexec_b64 s[8:9], s[6:7]
	s_cbranch_execnz .LBB4_40
.LBB4_26:                               ;   in Loop: Header=BB4_9 Depth=1
	s_or_b64 exec, exec, s[8:9]
	v_cmp_gt_u32_e64 s[8:9], s12, v27
	s_and_saveexec_b64 s[10:11], s[8:9]
	s_cbranch_execnz .LBB4_41
.LBB4_27:                               ;   in Loop: Header=BB4_9 Depth=1
	s_or_b64 exec, exec, s[10:11]
	v_cmp_gt_u32_e64 s[10:11], s12, v28
	s_and_saveexec_b64 s[12:13], s[10:11]
	s_cbranch_execz .LBB4_29
.LBB4_28:                               ;   in Loop: Header=BB4_9 Depth=1
	s_waitcnt lgkmcnt(0)
	global_store_dwordx2 v[18:19], v[16:17], off offset:48
.LBB4_29:                               ;   in Loop: Header=BB4_9 Depth=1
	s_or_b64 exec, exec, s[12:13]
	v_mov_b32_e32 v5, s17
	v_add_co_u32_e64 v4, s[12:13], s16, v29
	v_addc_co_u32_e64 v5, s[12:13], v30, v5, s[12:13]
	s_and_saveexec_b64 s[12:13], vcc
	s_cbranch_execnz .LBB4_42
; %bb.30:                               ;   in Loop: Header=BB4_9 Depth=1
	s_or_b64 exec, exec, s[12:13]
	s_and_saveexec_b64 s[12:13], s[0:1]
	s_cbranch_execnz .LBB4_43
.LBB4_31:                               ;   in Loop: Header=BB4_9 Depth=1
	s_or_b64 exec, exec, s[12:13]
	s_and_saveexec_b64 s[0:1], s[2:3]
	s_cbranch_execnz .LBB4_44
.LBB4_32:                               ;   in Loop: Header=BB4_9 Depth=1
	s_or_b64 exec, exec, s[0:1]
	s_and_saveexec_b64 s[0:1], s[4:5]
	s_cbranch_execnz .LBB4_45
.LBB4_33:                               ;   in Loop: Header=BB4_9 Depth=1
	s_or_b64 exec, exec, s[0:1]
	s_and_saveexec_b64 s[0:1], s[6:7]
	s_cbranch_execnz .LBB4_46
.LBB4_34:                               ;   in Loop: Header=BB4_9 Depth=1
	s_or_b64 exec, exec, s[0:1]
	s_and_saveexec_b64 s[0:1], s[8:9]
	s_cbranch_execnz .LBB4_47
.LBB4_35:                               ;   in Loop: Header=BB4_9 Depth=1
	s_or_b64 exec, exec, s[0:1]
	s_and_saveexec_b64 s[0:1], s[10:11]
	s_cbranch_execz .LBB4_8
	s_branch .LBB4_48
.LBB4_36:                               ;   in Loop: Header=BB4_9 Depth=1
	global_store_dwordx2 v[18:19], v[4:5], off
	s_or_b64 exec, exec, s[0:1]
	v_cmp_gt_u32_e64 s[0:1], s12, v23
	s_and_saveexec_b64 s[2:3], s[0:1]
	s_cbranch_execz .LBB4_23
.LBB4_37:                               ;   in Loop: Header=BB4_9 Depth=1
	global_store_dwordx2 v[18:19], v[6:7], off offset:8
	s_or_b64 exec, exec, s[2:3]
	v_cmp_gt_u32_e64 s[2:3], s12, v24
	s_and_saveexec_b64 s[4:5], s[2:3]
	s_cbranch_execz .LBB4_24
.LBB4_38:                               ;   in Loop: Header=BB4_9 Depth=1
	global_store_dwordx2 v[18:19], v[8:9], off offset:16
	s_or_b64 exec, exec, s[4:5]
	v_cmp_gt_u32_e64 s[4:5], s12, v25
	s_and_saveexec_b64 s[6:7], s[4:5]
	s_cbranch_execz .LBB4_25
.LBB4_39:                               ;   in Loop: Header=BB4_9 Depth=1
	global_store_dwordx2 v[18:19], v[10:11], off offset:24
	s_or_b64 exec, exec, s[6:7]
	v_cmp_gt_u32_e64 s[6:7], s12, v26
	s_and_saveexec_b64 s[8:9], s[6:7]
	s_cbranch_execz .LBB4_26
.LBB4_40:                               ;   in Loop: Header=BB4_9 Depth=1
	global_store_dwordx2 v[18:19], v[12:13], off offset:32
	s_or_b64 exec, exec, s[8:9]
	v_cmp_gt_u32_e64 s[8:9], s12, v27
	s_and_saveexec_b64 s[10:11], s[8:9]
	s_cbranch_execz .LBB4_27
.LBB4_41:                               ;   in Loop: Header=BB4_9 Depth=1
	global_store_dwordx2 v[18:19], v[14:15], off offset:40
	s_or_b64 exec, exec, s[10:11]
	v_cmp_gt_u32_e64 s[10:11], s12, v28
	s_and_saveexec_b64 s[12:13], s[10:11]
	s_cbranch_execnz .LBB4_28
	s_branch .LBB4_29
.LBB4_42:                               ;   in Loop: Header=BB4_9 Depth=1
	v_sub_u32_e32 v2, v20, v2
	global_store_byte v[4:5], v2, off
	s_or_b64 exec, exec, s[12:13]
	s_and_saveexec_b64 s[12:13], s[0:1]
	s_cbranch_execz .LBB4_31
.LBB4_43:                               ;   in Loop: Header=BB4_9 Depth=1
	v_add_u32_e32 v2, 1, v37
	global_store_byte v[4:5], v2, off offset:1
	s_or_b64 exec, exec, s[12:13]
	s_and_saveexec_b64 s[0:1], s[2:3]
	s_cbranch_execz .LBB4_32
.LBB4_44:                               ;   in Loop: Header=BB4_9 Depth=1
	v_add_u32_e32 v2, 2, v38
	global_store_byte v[4:5], v2, off offset:2
	s_or_b64 exec, exec, s[0:1]
	s_and_saveexec_b64 s[0:1], s[4:5]
	s_cbranch_execz .LBB4_33
.LBB4_45:                               ;   in Loop: Header=BB4_9 Depth=1
	v_add_u32_e32 v2, 3, v39
	global_store_byte v[4:5], v2, off offset:3
	s_or_b64 exec, exec, s[0:1]
	s_and_saveexec_b64 s[0:1], s[6:7]
	s_cbranch_execz .LBB4_34
.LBB4_46:                               ;   in Loop: Header=BB4_9 Depth=1
	v_add_u32_e32 v2, 4, v40
	global_store_byte v[4:5], v2, off offset:4
	s_or_b64 exec, exec, s[0:1]
	s_and_saveexec_b64 s[0:1], s[8:9]
	s_cbranch_execz .LBB4_35
.LBB4_47:                               ;   in Loop: Header=BB4_9 Depth=1
	v_add_u32_e32 v2, 5, v41
	global_store_byte v[4:5], v2, off offset:5
	s_or_b64 exec, exec, s[0:1]
	s_and_saveexec_b64 s[0:1], s[10:11]
	s_cbranch_execz .LBB4_8
.LBB4_48:                               ;   in Loop: Header=BB4_9 Depth=1
	v_add_u32_e32 v2, 6, v3
	global_store_byte v[4:5], v2, off offset:6
	s_branch .LBB4_8
.LBB4_49:
	s_endpgm
	.section	.rodata,"a",@progbits
	.p2align	6, 0x0
	.amdhsa_kernel _Z30block_run_length_decode_kernelIdcLj256ELj9ELj7EEvPKT_PKT0_PS0_PS3_
		.amdhsa_group_segment_fixed_size 27648
		.amdhsa_private_segment_fixed_size 0
		.amdhsa_kernarg_size 32
		.amdhsa_user_sgpr_count 6
		.amdhsa_user_sgpr_private_segment_buffer 1
		.amdhsa_user_sgpr_dispatch_ptr 0
		.amdhsa_user_sgpr_queue_ptr 0
		.amdhsa_user_sgpr_kernarg_segment_ptr 1
		.amdhsa_user_sgpr_dispatch_id 0
		.amdhsa_user_sgpr_flat_scratch_init 0
		.amdhsa_user_sgpr_kernarg_preload_length 0
		.amdhsa_user_sgpr_kernarg_preload_offset 0
		.amdhsa_user_sgpr_private_segment_size 0
		.amdhsa_uses_dynamic_stack 0
		.amdhsa_system_sgpr_private_segment_wavefront_offset 0
		.amdhsa_system_sgpr_workgroup_id_x 1
		.amdhsa_system_sgpr_workgroup_id_y 0
		.amdhsa_system_sgpr_workgroup_id_z 0
		.amdhsa_system_sgpr_workgroup_info 0
		.amdhsa_system_vgpr_workitem_id 0
		.amdhsa_next_free_vgpr 42
		.amdhsa_next_free_sgpr 19
		.amdhsa_accum_offset 44
		.amdhsa_reserve_vcc 1
		.amdhsa_reserve_flat_scratch 0
		.amdhsa_float_round_mode_32 0
		.amdhsa_float_round_mode_16_64 0
		.amdhsa_float_denorm_mode_32 3
		.amdhsa_float_denorm_mode_16_64 3
		.amdhsa_dx10_clamp 1
		.amdhsa_ieee_mode 1
		.amdhsa_fp16_overflow 0
		.amdhsa_tg_split 0
		.amdhsa_exception_fp_ieee_invalid_op 0
		.amdhsa_exception_fp_denorm_src 0
		.amdhsa_exception_fp_ieee_div_zero 0
		.amdhsa_exception_fp_ieee_overflow 0
		.amdhsa_exception_fp_ieee_underflow 0
		.amdhsa_exception_fp_ieee_inexact 0
		.amdhsa_exception_int_div_zero 0
	.end_amdhsa_kernel
	.section	.text._Z30block_run_length_decode_kernelIdcLj256ELj9ELj7EEvPKT_PKT0_PS0_PS3_,"axG",@progbits,_Z30block_run_length_decode_kernelIdcLj256ELj9ELj7EEvPKT_PKT0_PS0_PS3_,comdat
.Lfunc_end4:
	.size	_Z30block_run_length_decode_kernelIdcLj256ELj9ELj7EEvPKT_PKT0_PS0_PS3_, .Lfunc_end4-_Z30block_run_length_decode_kernelIdcLj256ELj9ELj7EEvPKT_PKT0_PS0_PS3_
                                        ; -- End function
	.section	.AMDGPU.csdata,"",@progbits
; Kernel info:
; codeLenInByte = 2868
; NumSgprs: 23
; NumVgprs: 42
; NumAgprs: 0
; TotalNumVgprs: 42
; ScratchSize: 0
; MemoryBound: 0
; FloatMode: 240
; IeeeMode: 1
; LDSByteSize: 27648 bytes/workgroup (compile time only)
; SGPRBlocks: 2
; VGPRBlocks: 5
; NumSGPRsForWavesPerEU: 23
; NumVGPRsForWavesPerEU: 42
; AccumOffset: 44
; Occupancy: 2
; WaveLimiterHint : 0
; COMPUTE_PGM_RSRC2:SCRATCH_EN: 0
; COMPUTE_PGM_RSRC2:USER_SGPR: 6
; COMPUTE_PGM_RSRC2:TRAP_HANDLER: 0
; COMPUTE_PGM_RSRC2:TGID_X_EN: 1
; COMPUTE_PGM_RSRC2:TGID_Y_EN: 0
; COMPUTE_PGM_RSRC2:TGID_Z_EN: 0
; COMPUTE_PGM_RSRC2:TIDIG_COMP_CNT: 0
; COMPUTE_PGM_RSRC3_GFX90A:ACCUM_OFFSET: 10
; COMPUTE_PGM_RSRC3_GFX90A:TG_SPLIT: 0
	.section	.text._Z30block_run_length_decode_kernelIiiLj256ELj9ELj7EEvPKT_PKT0_PS0_PS3_,"axG",@progbits,_Z30block_run_length_decode_kernelIiiLj256ELj9ELj7EEvPKT_PKT0_PS0_PS3_,comdat
	.protected	_Z30block_run_length_decode_kernelIiiLj256ELj9ELj7EEvPKT_PKT0_PS0_PS3_ ; -- Begin function _Z30block_run_length_decode_kernelIiiLj256ELj9ELj7EEvPKT_PKT0_PS0_PS3_
	.globl	_Z30block_run_length_decode_kernelIiiLj256ELj9ELj7EEvPKT_PKT0_PS0_PS3_
	.p2align	8
	.type	_Z30block_run_length_decode_kernelIiiLj256ELj9ELj7EEvPKT_PKT0_PS0_PS3_,@function
_Z30block_run_length_decode_kernelIiiLj256ELj9ELj7EEvPKT_PKT0_PS0_PS3_: ; @_Z30block_run_length_decode_kernelIiiLj256ELj9ELj7EEvPKT_PKT0_PS0_PS3_
; %bb.0:
	s_load_dwordx8 s[8:15], s[4:5], 0x0
	v_lshl_or_b32 v18, s6, 8, v0
	v_lshl_add_u32 v2, v18, 3, v18
	v_mov_b32_e32 v3, 0
	v_lshlrev_b64 v[2:3], 2, v[2:3]
	s_waitcnt lgkmcnt(0)
	v_mov_b32_e32 v1, s11
	v_add_co_u32_e32 v4, vcc, s10, v2
	v_addc_co_u32_e32 v5, vcc, v1, v3, vcc
	global_load_dwordx4 v[14:17], v[4:5], off
	global_load_dwordx4 v[10:13], v[4:5], off offset:16
	global_load_dword v22, v[4:5], off offset:32
	v_mov_b32_e32 v1, s9
	v_add_co_u32_e32 v20, vcc, s8, v2
	v_addc_co_u32_e32 v21, vcc, v1, v3, vcc
	global_load_dword v1, v[20:21], off offset:32
	global_load_dwordx4 v[2:5], v[20:21], off offset:16
	global_load_dwordx4 v[6:9], v[20:21], off
	v_mbcnt_lo_u32_b32 v19, -1, 0
	v_mbcnt_hi_u32_b32 v19, -1, v19
	v_and_b32_e32 v21, 15, v19
	v_cmp_ne_u32_e32 vcc, 0, v21
	v_bfe_i32 v24, v19, 4, 1
	v_or_b32_e32 v23, 63, v0
	v_lshrrev_b32_e32 v20, 6, v0
	s_waitcnt vmcnt(5)
	v_add3_u32 v25, v15, v14, v16
	s_waitcnt vmcnt(4)
	v_add3_u32 v25, v25, v17, v10
	v_add3_u32 v25, v25, v11, v12
	s_waitcnt vmcnt(3)
	v_add3_u32 v22, v25, v13, v22
	s_nop 1
	v_mov_b32_dpp v25, v22 row_shr:1 row_mask:0xf bank_mask:0xf
	v_cndmask_b32_e32 v25, 0, v25, vcc
	v_add_u32_e32 v22, v25, v22
	v_cmp_lt_u32_e32 vcc, 1, v21
	s_nop 0
	v_mov_b32_dpp v25, v22 row_shr:2 row_mask:0xf bank_mask:0xf
	v_cndmask_b32_e32 v25, 0, v25, vcc
	v_add_u32_e32 v22, v22, v25
	v_cmp_lt_u32_e32 vcc, 3, v21
	;; [unrolled: 5-line block ×4, first 2 shown]
	s_nop 0
	v_mov_b32_dpp v22, v21 row_bcast:15 row_mask:0xf bank_mask:0xf
	v_and_b32_e32 v22, v24, v22
	v_add_u32_e32 v21, v21, v22
	s_nop 1
	v_mov_b32_dpp v22, v21 row_bcast:31 row_mask:0xf bank_mask:0xf
	v_cndmask_b32_e32 v22, 0, v22, vcc
	v_add_u32_e32 v21, v21, v22
	v_cmp_eq_u32_e32 vcc, v23, v0
	s_and_saveexec_b64 s[0:1], vcc
	s_cbranch_execz .LBB5_2
; %bb.1:
	v_lshlrev_b32_e32 v22, 2, v20
	ds_write_b32 v22, v21
.LBB5_2:
	s_or_b64 exec, exec, s[0:1]
	v_cmp_gt_u32_e32 vcc, 4, v0
	s_waitcnt lgkmcnt(0)
	s_barrier
	s_and_saveexec_b64 s[0:1], vcc
	s_cbranch_execz .LBB5_4
; %bb.3:
	v_lshlrev_b32_e32 v22, 2, v0
	ds_read_b32 v23, v22
	v_and_b32_e32 v24, 3, v19
	v_cmp_ne_u32_e32 vcc, 0, v24
	s_waitcnt lgkmcnt(0)
	v_mov_b32_dpp v25, v23 row_shr:1 row_mask:0xf bank_mask:0xf
	v_cndmask_b32_e32 v25, 0, v25, vcc
	v_add_u32_e32 v23, v25, v23
	v_cmp_lt_u32_e32 vcc, 1, v24
	s_nop 0
	v_mov_b32_dpp v25, v23 row_shr:2 row_mask:0xf bank_mask:0xf
	v_cndmask_b32_e32 v24, 0, v25, vcc
	v_add_u32_e32 v23, v23, v24
	ds_write_b32 v22, v23
.LBB5_4:
	s_or_b64 exec, exec, s[0:1]
	v_cmp_lt_u32_e32 vcc, 63, v0
	v_mov_b32_e32 v22, 0
	v_mov_b32_e32 v23, 0
	s_waitcnt lgkmcnt(0)
	s_barrier
	s_and_saveexec_b64 s[0:1], vcc
	s_cbranch_execz .LBB5_6
; %bb.5:
	v_lshl_add_u32 v20, v20, 2, -4
	ds_read_b32 v23, v20
.LBB5_6:
	s_or_b64 exec, exec, s[0:1]
	s_waitcnt lgkmcnt(0)
	v_add_u32_e32 v20, v23, v21
	v_add_u32_e32 v21, -1, v19
	v_and_b32_e32 v24, 64, v19
	v_cmp_lt_i32_e32 vcc, v21, v24
	v_cndmask_b32_e32 v21, v21, v19, vcc
	v_lshlrev_b32_e32 v21, 2, v21
	ds_bpermute_b32 v20, v21, v20
	v_cmp_eq_u32_e32 vcc, 0, v19
	v_mul_u32_u24_e32 v21, 9, v0
	v_lshlrev_b32_e32 v21, 2, v21
	s_mov_b32 s17, 0
	s_waitcnt lgkmcnt(0)
	v_cndmask_b32_e32 v19, v20, v23, vcc
	v_cmp_ne_u32_e32 vcc, 0, v0
	v_cndmask_b32_e32 v19, 0, v19, vcc
	v_add_u32_e32 v14, v19, v14
	v_add_u32_e32 v15, v14, v15
	ds_read_b32 v20, v22 offset:12
	v_add_u32_e32 v16, v15, v16
	v_add_u32_e32 v17, v16, v17
	;; [unrolled: 1-line block ×4, first 2 shown]
	s_waitcnt lgkmcnt(0)
	s_barrier
	v_add_u32_e32 v22, 0x2400, v21
	s_waitcnt vmcnt(0)
	ds_write2_b32 v21, v6, v7 offset1:1
	ds_write2_b32 v22, v19, v14 offset1:1
	v_add_u32_e32 v6, 0x2408, v21
	v_add_u32_e32 v12, v11, v12
	ds_write2_b32 v21, v8, v9 offset0:2 offset1:3
	ds_write2_b32 v6, v15, v16 offset1:1
	v_add_u32_e32 v6, 0x2410, v21
	ds_write2_b32 v21, v2, v3 offset0:4 offset1:5
	ds_write2_b32 v6, v17, v10 offset1:1
	v_add_u32_e32 v2, 0x2418, v21
	v_cmp_eq_u32_e32 vcc, 0, v20
	v_add_u32_e32 v13, v12, v13
	v_readfirstlane_b32 s18, v20
	ds_write2_b32 v21, v4, v5 offset0:6 offset1:7
	ds_write2_b32 v2, v11, v12 offset1:1
	v_add_u32_e32 v2, 32, v21
	ds_write2st64_b32 v2, v1, v13 offset1:36
	s_waitcnt lgkmcnt(0)
	s_barrier
	s_cbranch_vccnz .LBB5_49
; %bb.7:
	v_mul_u32_u24_e32 v6, 7, v0
	v_mov_b32_e32 v1, 0
	v_mul_lo_u32 v0, v18, 7
	ds_read_b32 v7, v1 offset:13824
	v_lshlrev_b64 v[2:3], 2, v[0:1]
	v_mov_b32_e32 v4, s13
	v_add_co_u32_e32 v1, vcc, s12, v2
	v_addc_co_u32_e32 v8, vcc, v4, v3, vcc
	v_mov_b32_e32 v4, s15
	v_add_co_u32_e32 v15, vcc, s14, v2
	v_add_u32_e32 v9, 1, v0
	v_add_u32_e32 v10, 2, v0
	;; [unrolled: 1-line block ×6, first 2 shown]
	v_addc_co_u32_e32 v16, vcc, v4, v3, vcc
	v_mov_b32_e32 v17, 0x481
	v_mov_b32_e32 v18, 0x900
	;; [unrolled: 1-line block ×5, first 2 shown]
	s_mov_b32 s19, s18
	s_mov_b32 s16, s17
	s_branch .LBB5_9
.LBB5_8:                                ;   in Loop: Header=BB5_9 Depth=1
	s_or_b64 exec, exec, s[0:1]
	s_addk_i32 s16, 0x700
	s_addk_i32 s19, 0xf900
	s_cmp_lt_u32 s16, s18
	s_cbranch_scc0 .LBB5_49
.LBB5_9:                                ; =>This Inner Loop Header: Depth=1
	v_add_u32_e32 v4, s16, v6
	s_waitcnt lgkmcnt(0)
	v_cmp_gt_u32_e32 vcc, v7, v4
	v_cndmask_b32_e32 v3, v20, v21, vcc
	v_lshlrev_b32_e32 v5, 2, v3
	ds_read_b32 v5, v5 offset:9216
	v_cndmask_b32_e64 v2, v17, 0, vcc
	v_cndmask_b32_e32 v22, v18, v19, vcc
	v_or_b32_e32 v23, 1, v3
	s_waitcnt lgkmcnt(0)
	v_cmp_gt_u32_e32 vcc, v5, v4
	v_cndmask_b32_e32 v2, v23, v2, vcc
	v_cndmask_b32_e32 v3, v22, v3, vcc
	v_sub_u32_e32 v5, v3, v2
	v_lshrrev_b16_e32 v22, 15, v5
	v_add_u16_e32 v5, v5, v22
	v_ashrrev_i16_e32 v5, 1, v5
	v_add_u32_sdwa v5, v2, sext(v5) dst_sel:DWORD dst_unused:UNUSED_PAD src0_sel:DWORD src1_sel:WORD_0
	v_min_i32_e32 v5, 0x8ff, v5
	v_lshlrev_b32_e32 v22, 2, v5
	ds_read_b32 v22, v22 offset:9216
	v_add_u32_e32 v23, 1, v5
	s_waitcnt lgkmcnt(0)
	v_cmp_gt_u32_e32 vcc, v22, v4
	v_cndmask_b32_e32 v2, v23, v2, vcc
	v_cndmask_b32_e32 v3, v3, v5, vcc
	v_sub_u32_e32 v5, v3, v2
	v_lshrrev_b16_e32 v22, 15, v5
	v_add_u16_e32 v5, v5, v22
	v_ashrrev_i16_e32 v5, 1, v5
	v_add_u32_sdwa v5, v2, sext(v5) dst_sel:DWORD dst_unused:UNUSED_PAD src0_sel:DWORD src1_sel:WORD_0
	v_min_i32_e32 v5, 0x8ff, v5
	v_lshlrev_b32_e32 v22, 2, v5
	ds_read_b32 v22, v22 offset:9216
	v_add_u32_e32 v23, 1, v5
	;; [unrolled: 13-line block ×7, first 2 shown]
	s_waitcnt lgkmcnt(0)
	v_cmp_gt_u32_e32 vcc, v22, v4
	v_cndmask_b32_e32 v2, v23, v2, vcc
	v_cndmask_b32_e32 v3, v3, v5, vcc
	v_sub_u32_e32 v5, v3, v2
	v_lshrrev_b32_e32 v22, 31, v5
	v_add_u32_e32 v5, v5, v22
	v_ashrrev_i32_e32 v5, 1, v5
	v_add_u32_e32 v5, v5, v2
	v_min_i32_e32 v5, 0x8ff, v5
	v_lshlrev_b32_e32 v22, 2, v5
	ds_read_b32 v22, v22 offset:9216
	v_add_u32_e32 v23, 1, v5
	s_waitcnt lgkmcnt(0)
	v_cmp_gt_u32_e32 vcc, v22, v4
	v_cndmask_b32_e32 v2, v23, v2, vcc
	v_cndmask_b32_e32 v3, v3, v5, vcc
	v_sub_u32_e32 v5, v3, v2
	v_lshrrev_b32_e32 v22, 31, v5
	v_add_u32_e32 v5, v5, v22
	v_ashrrev_i32_e32 v5, 1, v5
	v_add_u32_e32 v5, v5, v2
	v_min_i32_e32 v5, 0x8ff, v5
	v_lshlrev_b32_e32 v22, 2, v5
	ds_read_b32 v22, v22 offset:9216
	v_add_u32_e32 v23, 1, v5
	s_waitcnt lgkmcnt(0)
	v_cmp_gt_u32_e32 vcc, v22, v4
	v_cndmask_b32_e32 v2, v23, v2, vcc
	v_cndmask_b32_e32 v3, v3, v5, vcc
	v_sub_u32_e32 v5, v3, v2
	v_lshrrev_b32_e32 v22, 31, v5
	v_add_u32_e32 v5, v5, v22
	v_ashrrev_i32_e32 v5, 1, v5
	v_add_u32_e32 v5, v5, v2
	v_min_i32_e32 v5, 0x8ff, v5
	v_lshlrev_b32_e32 v22, 2, v5
	ds_read_b32 v22, v22 offset:9216
	v_add_u32_e32 v23, 1, v5
	s_waitcnt lgkmcnt(0)
	v_cmp_gt_u32_e32 vcc, v22, v4
	v_cndmask_b32_e32 v2, v23, v2, vcc
	v_cndmask_b32_e32 v3, v3, v5, vcc
	v_sub_u32_e32 v3, v3, v2
	v_lshrrev_b32_e32 v5, 31, v3
	v_add_u32_e32 v3, v3, v5
	v_ashrrev_i32_e32 v3, 1, v3
	v_add_u32_e32 v3, v3, v2
	v_min_i32_e32 v3, 0x8ff, v3
	v_lshlrev_b32_e32 v5, 2, v3
	ds_read_b32 v5, v5 offset:9216
	v_add_u32_e32 v3, 1, v3
	s_waitcnt lgkmcnt(0)
	v_cmp_gt_u32_e32 vcc, v5, v4
	v_cndmask_b32_e32 v5, v3, v2, vcc
	v_lshlrev_b32_e32 v24, 2, v5
	v_add_u32_e32 v2, 0x23fc, v24
	ds_read2_b32 v[2:3], v2 offset1:1
	v_add_u32_e32 v22, -4, v24
	ds_read_b32 v27, v22
	v_add_u32_e32 v22, 1, v4
	s_waitcnt lgkmcnt(1)
	v_sub_u32_e32 v23, v4, v2
	v_cmp_eq_u32_e32 vcc, v22, v3
	v_mov_b32_e32 v22, v23
	s_waitcnt lgkmcnt(0)
	v_mov_b32_e32 v28, v27
	s_and_saveexec_b64 s[0:1], vcc
	s_cbranch_execz .LBB5_11
; %bb.10:                               ;   in Loop: Header=BB5_9 Depth=1
	ds_read_b32 v2, v24 offset:9220
	ds_read_b32 v28, v24
	v_add_u32_e32 v5, 1, v5
	v_sub_u32_e32 v22, v4, v3
	s_waitcnt lgkmcnt(1)
	v_mov_b32_e32 v3, v2
.LBB5_11:                               ;   in Loop: Header=BB5_9 Depth=1
	s_or_b64 exec, exec, s[0:1]
	v_add_u32_e32 v2, 2, v4
	v_cmp_eq_u32_e32 vcc, v2, v3
	v_mov_b32_e32 v24, v22
	s_waitcnt lgkmcnt(0)
	v_mov_b32_e32 v30, v28
	s_and_saveexec_b64 s[0:1], vcc
	s_cbranch_execz .LBB5_13
; %bb.12:                               ;   in Loop: Header=BB5_9 Depth=1
	v_lshlrev_b32_e32 v2, 2, v5
	ds_read_b32 v25, v2 offset:9220
	ds_read_b32 v30, v2
	v_add_u32_e32 v5, 1, v5
	v_sub_u32_e32 v24, v4, v3
	s_waitcnt lgkmcnt(1)
	v_mov_b32_e32 v3, v25
.LBB5_13:                               ;   in Loop: Header=BB5_9 Depth=1
	s_or_b64 exec, exec, s[0:1]
	v_add_u32_e32 v2, 3, v4
	v_cmp_eq_u32_e32 vcc, v2, v3
	v_mov_b32_e32 v25, v24
	s_waitcnt lgkmcnt(0)
	v_mov_b32_e32 v32, v30
	s_and_saveexec_b64 s[0:1], vcc
	s_cbranch_execz .LBB5_15
; %bb.14:                               ;   in Loop: Header=BB5_9 Depth=1
	v_lshlrev_b32_e32 v25, 2, v5
	v_add_u32_e32 v2, 0x2400, v25
	ds_read2_b32 v[2:3], v2 offset1:1
	ds_read_b32 v32, v25
	v_add_u32_e32 v5, 1, v5
	s_waitcnt lgkmcnt(1)
	v_sub_u32_e32 v25, v4, v2
.LBB5_15:                               ;   in Loop: Header=BB5_9 Depth=1
	s_or_b64 exec, exec, s[0:1]
	v_add_u32_e32 v2, 4, v4
	v_cmp_eq_u32_e32 vcc, v2, v3
	v_mov_b32_e32 v26, v25
	s_waitcnt lgkmcnt(0)
	v_mov_b32_e32 v33, v32
	s_and_saveexec_b64 s[0:1], vcc
	s_cbranch_execz .LBB5_17
; %bb.16:                               ;   in Loop: Header=BB5_9 Depth=1
	v_lshlrev_b32_e32 v26, 2, v5
	v_add_u32_e32 v2, 0x2400, v26
	ds_read2_b32 v[2:3], v2 offset1:1
	ds_read_b32 v33, v26
	v_add_u32_e32 v5, 1, v5
	s_waitcnt lgkmcnt(1)
	v_sub_u32_e32 v26, v4, v2
.LBB5_17:                               ;   in Loop: Header=BB5_9 Depth=1
	;; [unrolled: 17-line block ×3, first 2 shown]
	s_or_b64 exec, exec, s[0:1]
	v_add_u32_e32 v2, 6, v4
	v_cmp_eq_u32_e32 vcc, v2, v3
	v_mov_b32_e32 v31, v29
	s_waitcnt lgkmcnt(0)
	v_mov_b32_e32 v2, v34
	s_and_saveexec_b64 s[0:1], vcc
	s_cbranch_execz .LBB5_21
; %bb.20:                               ;   in Loop: Header=BB5_9 Depth=1
	v_lshlrev_b32_e32 v2, 2, v5
	ds_read2st64_b32 v[2:3], v2 offset1:36
	s_waitcnt lgkmcnt(0)
	v_sub_u32_e32 v31, v4, v3
.LBB5_21:                               ;   in Loop: Header=BB5_9 Depth=1
	s_or_b64 exec, exec, s[0:1]
	s_lshl_b64 s[12:13], s[16:17], 2
	v_mov_b32_e32 v3, s13
	v_add_co_u32_e32 v4, vcc, s12, v1
	s_min_u32 s14, s19, 0x700
	v_addc_co_u32_e32 v5, vcc, v8, v3, vcc
	v_cmp_gt_u32_e32 vcc, s14, v0
	s_and_saveexec_b64 s[0:1], vcc
	s_cbranch_execnz .LBB5_36
; %bb.22:                               ;   in Loop: Header=BB5_9 Depth=1
	s_or_b64 exec, exec, s[0:1]
	v_cmp_gt_u32_e64 s[0:1], s14, v9
	s_and_saveexec_b64 s[2:3], s[0:1]
	s_cbranch_execnz .LBB5_37
.LBB5_23:                               ;   in Loop: Header=BB5_9 Depth=1
	s_or_b64 exec, exec, s[2:3]
	v_cmp_gt_u32_e64 s[2:3], s14, v10
	s_and_saveexec_b64 s[4:5], s[2:3]
	s_cbranch_execnz .LBB5_38
.LBB5_24:                               ;   in Loop: Header=BB5_9 Depth=1
	s_or_b64 exec, exec, s[4:5]
	v_cmp_gt_u32_e64 s[4:5], s14, v11
	s_and_saveexec_b64 s[6:7], s[4:5]
	s_cbranch_execnz .LBB5_39
.LBB5_25:                               ;   in Loop: Header=BB5_9 Depth=1
	s_or_b64 exec, exec, s[6:7]
	v_cmp_gt_u32_e64 s[6:7], s14, v12
	s_and_saveexec_b64 s[8:9], s[6:7]
	s_cbranch_execnz .LBB5_40
.LBB5_26:                               ;   in Loop: Header=BB5_9 Depth=1
	s_or_b64 exec, exec, s[8:9]
	v_cmp_gt_u32_e64 s[8:9], s14, v13
	s_and_saveexec_b64 s[10:11], s[8:9]
	s_cbranch_execnz .LBB5_41
.LBB5_27:                               ;   in Loop: Header=BB5_9 Depth=1
	s_or_b64 exec, exec, s[10:11]
	v_cmp_gt_u32_e64 s[10:11], s14, v14
	s_and_saveexec_b64 s[14:15], s[10:11]
	s_cbranch_execz .LBB5_29
.LBB5_28:                               ;   in Loop: Header=BB5_9 Depth=1
	global_store_dword v[4:5], v2, off offset:24
.LBB5_29:                               ;   in Loop: Header=BB5_9 Depth=1
	s_or_b64 exec, exec, s[14:15]
	v_mov_b32_e32 v3, s13
	v_add_co_u32_e64 v2, s[12:13], s12, v15
	v_addc_co_u32_e64 v3, s[12:13], v16, v3, s[12:13]
	s_and_saveexec_b64 s[12:13], vcc
	s_cbranch_execnz .LBB5_42
; %bb.30:                               ;   in Loop: Header=BB5_9 Depth=1
	s_or_b64 exec, exec, s[12:13]
	s_and_saveexec_b64 s[12:13], s[0:1]
	s_cbranch_execnz .LBB5_43
.LBB5_31:                               ;   in Loop: Header=BB5_9 Depth=1
	s_or_b64 exec, exec, s[12:13]
	s_and_saveexec_b64 s[0:1], s[2:3]
	s_cbranch_execnz .LBB5_44
.LBB5_32:                               ;   in Loop: Header=BB5_9 Depth=1
	s_or_b64 exec, exec, s[0:1]
	s_and_saveexec_b64 s[0:1], s[4:5]
	s_cbranch_execnz .LBB5_45
.LBB5_33:                               ;   in Loop: Header=BB5_9 Depth=1
	s_or_b64 exec, exec, s[0:1]
	s_and_saveexec_b64 s[0:1], s[6:7]
	s_cbranch_execnz .LBB5_46
.LBB5_34:                               ;   in Loop: Header=BB5_9 Depth=1
	s_or_b64 exec, exec, s[0:1]
	s_and_saveexec_b64 s[0:1], s[8:9]
	s_cbranch_execnz .LBB5_47
.LBB5_35:                               ;   in Loop: Header=BB5_9 Depth=1
	s_or_b64 exec, exec, s[0:1]
	s_and_saveexec_b64 s[0:1], s[10:11]
	s_cbranch_execz .LBB5_8
	s_branch .LBB5_48
.LBB5_36:                               ;   in Loop: Header=BB5_9 Depth=1
	global_store_dword v[4:5], v27, off
	s_or_b64 exec, exec, s[0:1]
	v_cmp_gt_u32_e64 s[0:1], s14, v9
	s_and_saveexec_b64 s[2:3], s[0:1]
	s_cbranch_execz .LBB5_23
.LBB5_37:                               ;   in Loop: Header=BB5_9 Depth=1
	global_store_dword v[4:5], v28, off offset:4
	s_or_b64 exec, exec, s[2:3]
	v_cmp_gt_u32_e64 s[2:3], s14, v10
	s_and_saveexec_b64 s[4:5], s[2:3]
	s_cbranch_execz .LBB5_24
.LBB5_38:                               ;   in Loop: Header=BB5_9 Depth=1
	global_store_dword v[4:5], v30, off offset:8
	s_or_b64 exec, exec, s[4:5]
	v_cmp_gt_u32_e64 s[4:5], s14, v11
	s_and_saveexec_b64 s[6:7], s[4:5]
	s_cbranch_execz .LBB5_25
.LBB5_39:                               ;   in Loop: Header=BB5_9 Depth=1
	global_store_dword v[4:5], v32, off offset:12
	s_or_b64 exec, exec, s[6:7]
	v_cmp_gt_u32_e64 s[6:7], s14, v12
	s_and_saveexec_b64 s[8:9], s[6:7]
	s_cbranch_execz .LBB5_26
.LBB5_40:                               ;   in Loop: Header=BB5_9 Depth=1
	global_store_dword v[4:5], v33, off offset:16
	s_or_b64 exec, exec, s[8:9]
	v_cmp_gt_u32_e64 s[8:9], s14, v13
	s_and_saveexec_b64 s[10:11], s[8:9]
	s_cbranch_execz .LBB5_27
.LBB5_41:                               ;   in Loop: Header=BB5_9 Depth=1
	global_store_dword v[4:5], v34, off offset:20
	s_or_b64 exec, exec, s[10:11]
	v_cmp_gt_u32_e64 s[10:11], s14, v14
	s_and_saveexec_b64 s[14:15], s[10:11]
	s_cbranch_execnz .LBB5_28
	s_branch .LBB5_29
.LBB5_42:                               ;   in Loop: Header=BB5_9 Depth=1
	global_store_dword v[2:3], v23, off
	s_or_b64 exec, exec, s[12:13]
	s_and_saveexec_b64 s[12:13], s[0:1]
	s_cbranch_execz .LBB5_31
.LBB5_43:                               ;   in Loop: Header=BB5_9 Depth=1
	v_add_u32_e32 v4, 1, v22
	global_store_dword v[2:3], v4, off offset:4
	s_or_b64 exec, exec, s[12:13]
	s_and_saveexec_b64 s[0:1], s[2:3]
	s_cbranch_execz .LBB5_32
.LBB5_44:                               ;   in Loop: Header=BB5_9 Depth=1
	v_add_u32_e32 v4, 2, v24
	global_store_dword v[2:3], v4, off offset:8
	s_or_b64 exec, exec, s[0:1]
	s_and_saveexec_b64 s[0:1], s[4:5]
	s_cbranch_execz .LBB5_33
.LBB5_45:                               ;   in Loop: Header=BB5_9 Depth=1
	v_add_u32_e32 v4, 3, v25
	global_store_dword v[2:3], v4, off offset:12
	s_or_b64 exec, exec, s[0:1]
	s_and_saveexec_b64 s[0:1], s[6:7]
	s_cbranch_execz .LBB5_34
.LBB5_46:                               ;   in Loop: Header=BB5_9 Depth=1
	v_add_u32_e32 v4, 4, v26
	global_store_dword v[2:3], v4, off offset:16
	s_or_b64 exec, exec, s[0:1]
	s_and_saveexec_b64 s[0:1], s[8:9]
	s_cbranch_execz .LBB5_35
.LBB5_47:                               ;   in Loop: Header=BB5_9 Depth=1
	v_add_u32_e32 v4, 5, v29
	global_store_dword v[2:3], v4, off offset:20
	s_or_b64 exec, exec, s[0:1]
	s_and_saveexec_b64 s[0:1], s[10:11]
	s_cbranch_execz .LBB5_8
.LBB5_48:                               ;   in Loop: Header=BB5_9 Depth=1
	v_add_u32_e32 v4, 6, v31
	global_store_dword v[2:3], v4, off offset:24
	s_branch .LBB5_8
.LBB5_49:
	s_endpgm
	.section	.rodata,"a",@progbits
	.p2align	6, 0x0
	.amdhsa_kernel _Z30block_run_length_decode_kernelIiiLj256ELj9ELj7EEvPKT_PKT0_PS0_PS3_
		.amdhsa_group_segment_fixed_size 18432
		.amdhsa_private_segment_fixed_size 0
		.amdhsa_kernarg_size 32
		.amdhsa_user_sgpr_count 6
		.amdhsa_user_sgpr_private_segment_buffer 1
		.amdhsa_user_sgpr_dispatch_ptr 0
		.amdhsa_user_sgpr_queue_ptr 0
		.amdhsa_user_sgpr_kernarg_segment_ptr 1
		.amdhsa_user_sgpr_dispatch_id 0
		.amdhsa_user_sgpr_flat_scratch_init 0
		.amdhsa_user_sgpr_kernarg_preload_length 0
		.amdhsa_user_sgpr_kernarg_preload_offset 0
		.amdhsa_user_sgpr_private_segment_size 0
		.amdhsa_uses_dynamic_stack 0
		.amdhsa_system_sgpr_private_segment_wavefront_offset 0
		.amdhsa_system_sgpr_workgroup_id_x 1
		.amdhsa_system_sgpr_workgroup_id_y 0
		.amdhsa_system_sgpr_workgroup_id_z 0
		.amdhsa_system_sgpr_workgroup_info 0
		.amdhsa_system_vgpr_workitem_id 0
		.amdhsa_next_free_vgpr 35
		.amdhsa_next_free_sgpr 20
		.amdhsa_accum_offset 36
		.amdhsa_reserve_vcc 1
		.amdhsa_reserve_flat_scratch 0
		.amdhsa_float_round_mode_32 0
		.amdhsa_float_round_mode_16_64 0
		.amdhsa_float_denorm_mode_32 3
		.amdhsa_float_denorm_mode_16_64 3
		.amdhsa_dx10_clamp 1
		.amdhsa_ieee_mode 1
		.amdhsa_fp16_overflow 0
		.amdhsa_tg_split 0
		.amdhsa_exception_fp_ieee_invalid_op 0
		.amdhsa_exception_fp_denorm_src 0
		.amdhsa_exception_fp_ieee_div_zero 0
		.amdhsa_exception_fp_ieee_overflow 0
		.amdhsa_exception_fp_ieee_underflow 0
		.amdhsa_exception_fp_ieee_inexact 0
		.amdhsa_exception_int_div_zero 0
	.end_amdhsa_kernel
	.section	.text._Z30block_run_length_decode_kernelIiiLj256ELj9ELj7EEvPKT_PKT0_PS0_PS3_,"axG",@progbits,_Z30block_run_length_decode_kernelIiiLj256ELj9ELj7EEvPKT_PKT0_PS0_PS3_,comdat
.Lfunc_end5:
	.size	_Z30block_run_length_decode_kernelIiiLj256ELj9ELj7EEvPKT_PKT0_PS0_PS3_, .Lfunc_end5-_Z30block_run_length_decode_kernelIiiLj256ELj9ELj7EEvPKT_PKT0_PS0_PS3_
                                        ; -- End function
	.section	.AMDGPU.csdata,"",@progbits
; Kernel info:
; codeLenInByte = 2692
; NumSgprs: 24
; NumVgprs: 35
; NumAgprs: 0
; TotalNumVgprs: 35
; ScratchSize: 0
; MemoryBound: 0
; FloatMode: 240
; IeeeMode: 1
; LDSByteSize: 18432 bytes/workgroup (compile time only)
; SGPRBlocks: 2
; VGPRBlocks: 4
; NumSGPRsForWavesPerEU: 24
; NumVGPRsForWavesPerEU: 35
; AccumOffset: 36
; Occupancy: 3
; WaveLimiterHint : 0
; COMPUTE_PGM_RSRC2:SCRATCH_EN: 0
; COMPUTE_PGM_RSRC2:USER_SGPR: 6
; COMPUTE_PGM_RSRC2:TRAP_HANDLER: 0
; COMPUTE_PGM_RSRC2:TGID_X_EN: 1
; COMPUTE_PGM_RSRC2:TGID_Y_EN: 0
; COMPUTE_PGM_RSRC2:TGID_Z_EN: 0
; COMPUTE_PGM_RSRC2:TIDIG_COMP_CNT: 0
; COMPUTE_PGM_RSRC3_GFX90A:ACCUM_OFFSET: 8
; COMPUTE_PGM_RSRC3_GFX90A:TG_SPLIT: 0
	.section	.text._Z30block_run_length_decode_kernelI12hip_bfloat16iLj256ELj1ELj14EEvPKT_PKT0_PS1_PS4_,"axG",@progbits,_Z30block_run_length_decode_kernelI12hip_bfloat16iLj256ELj1ELj14EEvPKT_PKT0_PS1_PS4_,comdat
	.protected	_Z30block_run_length_decode_kernelI12hip_bfloat16iLj256ELj1ELj14EEvPKT_PKT0_PS1_PS4_ ; -- Begin function _Z30block_run_length_decode_kernelI12hip_bfloat16iLj256ELj1ELj14EEvPKT_PKT0_PS1_PS4_
	.globl	_Z30block_run_length_decode_kernelI12hip_bfloat16iLj256ELj1ELj14EEvPKT_PKT0_PS1_PS4_
	.p2align	8
	.type	_Z30block_run_length_decode_kernelI12hip_bfloat16iLj256ELj1ELj14EEvPKT_PKT0_PS1_PS4_,@function
_Z30block_run_length_decode_kernelI12hip_bfloat16iLj256ELj1ELj14EEvPKT_PKT0_PS1_PS4_: ; @_Z30block_run_length_decode_kernelI12hip_bfloat16iLj256ELj1ELj14EEvPKT_PKT0_PS1_PS4_
; %bb.0:
	s_load_dwordx8 s[8:15], s[4:5], 0x0
	v_lshl_or_b32 v2, s6, 8, v0
	v_mov_b32_e32 v3, 0
	v_lshlrev_b64 v[4:5], 2, v[2:3]
	s_waitcnt lgkmcnt(0)
	v_mov_b32_e32 v1, s11
	v_add_co_u32_e32 v4, vcc, s10, v4
	v_addc_co_u32_e32 v5, vcc, v1, v5, vcc
	global_load_dword v6, v[4:5], off
	v_lshlrev_b64 v[4:5], 1, v[2:3]
	v_mov_b32_e32 v1, s9
	v_add_co_u32_e32 v4, vcc, s8, v4
	v_addc_co_u32_e32 v5, vcc, v1, v5, vcc
	global_load_ushort v1, v[4:5], off
	v_mbcnt_lo_u32_b32 v3, -1, 0
	v_mbcnt_hi_u32_b32 v3, -1, v3
	v_and_b32_e32 v7, 15, v3
	v_cmp_ne_u32_e32 vcc, 0, v7
	v_bfe_i32 v8, v3, 4, 1
	v_or_b32_e32 v5, 63, v0
	v_lshrrev_b32_e32 v4, 6, v0
	s_waitcnt vmcnt(1)
	v_mov_b32_dpp v9, v6 row_shr:1 row_mask:0xf bank_mask:0xf
	v_cndmask_b32_e32 v9, 0, v9, vcc
	v_add_u32_e32 v6, v9, v6
	v_cmp_lt_u32_e32 vcc, 1, v7
	s_nop 0
	v_mov_b32_dpp v9, v6 row_shr:2 row_mask:0xf bank_mask:0xf
	v_cndmask_b32_e32 v9, 0, v9, vcc
	v_add_u32_e32 v6, v6, v9
	v_cmp_lt_u32_e32 vcc, 3, v7
	s_nop 0
	;; [unrolled: 5-line block ×4, first 2 shown]
	v_mov_b32_dpp v7, v6 row_bcast:15 row_mask:0xf bank_mask:0xf
	v_and_b32_e32 v7, v8, v7
	v_add_u32_e32 v6, v6, v7
	s_nop 1
	v_mov_b32_dpp v7, v6 row_bcast:31 row_mask:0xf bank_mask:0xf
	v_cndmask_b32_e32 v7, 0, v7, vcc
	v_add_u32_e32 v6, v6, v7
	v_cmp_eq_u32_e32 vcc, v5, v0
	s_and_saveexec_b64 s[0:1], vcc
	s_cbranch_execz .LBB6_2
; %bb.1:
	v_lshlrev_b32_e32 v5, 2, v4
	ds_write_b32 v5, v6
.LBB6_2:
	s_or_b64 exec, exec, s[0:1]
	v_cmp_gt_u32_e32 vcc, 4, v0
	v_lshlrev_b32_e32 v5, 2, v0
	s_waitcnt lgkmcnt(0)
	s_barrier
	s_and_saveexec_b64 s[0:1], vcc
	s_cbranch_execz .LBB6_4
; %bb.3:
	ds_read_b32 v7, v5
	v_and_b32_e32 v8, 3, v3
	v_cmp_ne_u32_e32 vcc, 0, v8
	s_waitcnt lgkmcnt(0)
	v_mov_b32_dpp v9, v7 row_shr:1 row_mask:0xf bank_mask:0xf
	v_cndmask_b32_e32 v9, 0, v9, vcc
	v_add_u32_e32 v7, v9, v7
	v_cmp_lt_u32_e32 vcc, 1, v8
	s_nop 0
	v_mov_b32_dpp v9, v7 row_shr:2 row_mask:0xf bank_mask:0xf
	v_cndmask_b32_e32 v8, 0, v9, vcc
	v_add_u32_e32 v7, v7, v8
	ds_write_b32 v5, v7
.LBB6_4:
	s_or_b64 exec, exec, s[0:1]
	v_cmp_lt_u32_e32 vcc, 63, v0
	v_mov_b32_e32 v7, 0
	v_mov_b32_e32 v8, 0
	s_waitcnt lgkmcnt(0)
	s_barrier
	s_and_saveexec_b64 s[0:1], vcc
	s_cbranch_execz .LBB6_6
; %bb.5:
	v_lshl_add_u32 v4, v4, 2, -4
	ds_read_b32 v8, v4
.LBB6_6:
	s_or_b64 exec, exec, s[0:1]
	s_waitcnt lgkmcnt(0)
	v_add_u32_e32 v4, v8, v6
	v_add_u32_e32 v6, -1, v3
	v_and_b32_e32 v9, 64, v3
	v_cmp_lt_i32_e32 vcc, v6, v9
	v_cndmask_b32_e32 v6, v6, v3, vcc
	v_lshlrev_b32_e32 v6, 2, v6
	ds_bpermute_b32 v4, v6, v4
	ds_read_b32 v6, v7 offset:12
	v_cmp_eq_u32_e32 vcc, 0, v3
	s_mov_b32 s29, 0
	s_waitcnt lgkmcnt(0)
	v_cndmask_b32_e32 v3, v4, v8, vcc
	v_cmp_eq_u32_e32 vcc, 0, v6
	v_readfirstlane_b32 s30, v6
	v_lshlrev_b32_e32 v4, 1, v0
	s_and_b64 vcc, exec, vcc
	s_barrier
	s_waitcnt vmcnt(0)
	ds_write_b16 v4, v1
	ds_write_b32 v5, v3 offset:512
	s_waitcnt lgkmcnt(0)
	s_barrier
	s_cbranch_vccnz .LBB6_91
; %bb.7:
	v_mul_u32_u24_e32 v4, 14, v0
	v_mov_b32_e32 v1, 0
	v_mul_lo_u32 v0, v2, 14
	ds_read_b32 v5, v1 offset:1024
	v_lshlrev_b64 v[2:3], 1, v[0:1]
	v_mov_b32_e32 v7, s13
	v_add_co_u32_e32 v6, vcc, s12, v2
	v_addc_co_u32_e32 v7, vcc, v7, v3, vcc
	v_lshlrev_b64 v[2:3], 2, v[0:1]
	v_mov_b32_e32 v21, s15
	v_add_co_u32_e32 v1, vcc, s14, v2
	v_or_b32_e32 v8, 1, v0
	v_add_u32_e32 v9, 2, v0
	v_add_u32_e32 v10, 3, v0
	;; [unrolled: 1-line block ×12, first 2 shown]
	v_addc_co_u32_e32 v21, vcc, v21, v3, vcc
	v_mov_b32_e32 v22, 0x81
	v_mov_b32_e32 v23, 0x100
	;; [unrolled: 1-line block ×4, first 2 shown]
	s_mov_b32 s31, s30
	s_mov_b32 s28, s29
	s_branch .LBB6_9
.LBB6_8:                                ;   in Loop: Header=BB6_9 Depth=1
	s_or_b64 exec, exec, s[0:1]
	s_addk_i32 s28, 0xe00
	s_addk_i32 s31, 0xf200
	s_cmp_lt_u32 s28, s30
	s_cbranch_scc0 .LBB6_91
.LBB6_9:                                ; =>This Inner Loop Header: Depth=1
	v_add_u32_e32 v30, s28, v4
	s_waitcnt lgkmcnt(0)
	v_cmp_gt_u32_e32 vcc, v5, v30
	v_cndmask_b32_e64 v3, v25, 64, vcc
	v_lshlrev_b32_e32 v26, 2, v3
	ds_read_b32 v26, v26 offset:512
	v_cndmask_b32_e64 v2, v22, 0, vcc
	v_cndmask_b32_e32 v27, v23, v24, vcc
	v_or_b32_e32 v28, 1, v3
	s_waitcnt lgkmcnt(0)
	v_cmp_gt_u32_e32 vcc, v26, v30
	v_cndmask_b32_e32 v2, v28, v2, vcc
	v_cndmask_b32_e32 v3, v27, v3, vcc
	v_sub_u32_e32 v26, v3, v2
	v_lshrrev_b16_e32 v27, 15, v26
	v_add_u16_e32 v26, v26, v27
	v_ashrrev_i16_e32 v26, 1, v26
	v_add_u32_sdwa v26, v2, sext(v26) dst_sel:DWORD dst_unused:UNUSED_PAD src0_sel:DWORD src1_sel:WORD_0
	v_min_i32_e32 v26, 0xff, v26
	v_lshlrev_b32_e32 v27, 2, v26
	ds_read_b32 v27, v27 offset:512
	v_add_u32_e32 v28, 1, v26
	s_waitcnt lgkmcnt(0)
	v_cmp_gt_u32_e32 vcc, v27, v30
	v_cndmask_b32_e32 v2, v28, v2, vcc
	v_cndmask_b32_e32 v3, v3, v26, vcc
	v_sub_u32_e32 v26, v3, v2
	v_lshrrev_b16_e32 v27, 15, v26
	v_add_u16_e32 v26, v26, v27
	v_ashrrev_i16_e32 v26, 1, v26
	v_add_u32_sdwa v26, v2, sext(v26) dst_sel:DWORD dst_unused:UNUSED_PAD src0_sel:DWORD src1_sel:WORD_0
	v_min_i32_e32 v26, 0xff, v26
	v_lshlrev_b32_e32 v27, 2, v26
	ds_read_b32 v27, v27 offset:512
	v_add_u32_e32 v28, 1, v26
	s_waitcnt lgkmcnt(0)
	v_cmp_gt_u32_e32 vcc, v27, v30
	v_cndmask_b32_e32 v2, v28, v2, vcc
	v_cndmask_b32_e32 v3, v3, v26, vcc
	v_sub_u32_e32 v26, v3, v2
	v_lshrrev_b16_e32 v27, 15, v26
	v_add_u16_e32 v26, v26, v27
	v_ashrrev_i16_e32 v26, 1, v26
	v_add_u32_sdwa v26, v2, sext(v26) dst_sel:DWORD dst_unused:UNUSED_PAD src0_sel:DWORD src1_sel:WORD_0
	v_min_i32_e32 v26, 0xff, v26
	v_lshlrev_b32_e32 v27, 2, v26
	ds_read_b32 v27, v27 offset:512
	v_add_u32_e32 v28, 1, v26
	s_waitcnt lgkmcnt(0)
	v_cmp_gt_u32_e32 vcc, v27, v30
	v_cndmask_b32_e32 v2, v28, v2, vcc
	v_cndmask_b32_e32 v3, v3, v26, vcc
	v_sub_u32_e32 v26, v3, v2
	v_lshrrev_b16_e32 v27, 15, v26
	v_add_u16_e32 v26, v26, v27
	v_ashrrev_i16_e32 v26, 1, v26
	v_add_u32_sdwa v26, v2, sext(v26) dst_sel:DWORD dst_unused:UNUSED_PAD src0_sel:DWORD src1_sel:WORD_0
	v_min_i32_e32 v26, 0xff, v26
	v_lshlrev_b32_e32 v27, 2, v26
	ds_read_b32 v27, v27 offset:512
	v_add_u32_e32 v28, 1, v26
	s_waitcnt lgkmcnt(0)
	v_cmp_gt_u32_e32 vcc, v27, v30
	v_cndmask_b32_e32 v2, v28, v2, vcc
	v_cndmask_b32_e32 v3, v3, v26, vcc
	v_sub_u32_e32 v26, v3, v2
	v_lshrrev_b16_e32 v27, 15, v26
	v_add_u16_e32 v26, v26, v27
	v_ashrrev_i16_e32 v26, 1, v26
	v_add_u32_sdwa v26, v2, sext(v26) dst_sel:DWORD dst_unused:UNUSED_PAD src0_sel:DWORD src1_sel:WORD_0
	v_min_i32_e32 v26, 0xff, v26
	v_lshlrev_b32_e32 v27, 2, v26
	ds_read_b32 v27, v27 offset:512
	v_add_u32_e32 v28, 1, v26
	s_waitcnt lgkmcnt(0)
	v_cmp_gt_u32_e32 vcc, v27, v30
	v_cndmask_b32_e32 v2, v28, v2, vcc
	v_cndmask_b32_e32 v3, v3, v26, vcc
	v_sub_u32_e32 v26, v3, v2
	v_lshrrev_b16_e32 v27, 15, v26
	v_add_u16_e32 v26, v26, v27
	v_ashrrev_i16_e32 v26, 1, v26
	v_add_u32_sdwa v26, v2, sext(v26) dst_sel:DWORD dst_unused:UNUSED_PAD src0_sel:DWORD src1_sel:WORD_0
	v_min_i32_e32 v26, 0xff, v26
	v_lshlrev_b32_e32 v27, 2, v26
	ds_read_b32 v27, v27 offset:512
	v_add_u32_e32 v28, 1, v26
	s_waitcnt lgkmcnt(0)
	v_cmp_gt_u32_e32 vcc, v27, v30
	v_cndmask_b32_e32 v2, v28, v2, vcc
	v_cndmask_b32_e32 v3, v3, v26, vcc
	v_sub_u32_e32 v3, v3, v2
	v_lshrrev_b16_e32 v26, 15, v3
	v_add_u16_e32 v3, v3, v26
	v_ashrrev_i16_e32 v3, 1, v3
	v_add_u32_sdwa v3, v2, sext(v3) dst_sel:DWORD dst_unused:UNUSED_PAD src0_sel:DWORD src1_sel:WORD_0
	v_min_i32_e32 v3, 0xff, v3
	v_lshlrev_b32_e32 v26, 2, v3
	ds_read_b32 v26, v26 offset:512
	v_add_u32_e32 v3, 1, v3
	v_add_u32_e32 v27, 1, v30
	s_waitcnt lgkmcnt(0)
	v_cmp_gt_u32_e32 vcc, v26, v30
	v_cndmask_b32_e32 v38, v3, v2, vcc
	v_lshlrev_b32_e32 v28, 2, v38
	ds_read2_b32 v[2:3], v28 offset0:127 offset1:128
	v_lshl_add_u32 v26, v38, 1, -2
	ds_read_u16 v35, v26
	s_waitcnt lgkmcnt(1)
	v_sub_u32_e32 v26, v30, v2
	v_cmp_eq_u32_e32 vcc, v27, v3
	v_mov_b32_e32 v27, v26
	s_waitcnt lgkmcnt(0)
	v_mov_b32_e32 v37, v35
	s_and_saveexec_b64 s[0:1], vcc
	s_cbranch_execz .LBB6_11
; %bb.10:                               ;   in Loop: Header=BB6_9 Depth=1
	v_lshlrev_b32_e32 v2, 1, v38
	ds_read_b32 v28, v28 offset:516
	ds_read_u16 v37, v2
	v_add_u32_e32 v38, 1, v38
	v_sub_u32_e32 v27, v30, v3
	s_waitcnt lgkmcnt(1)
	v_mov_b32_e32 v3, v28
.LBB6_11:                               ;   in Loop: Header=BB6_9 Depth=1
	s_or_b64 exec, exec, s[0:1]
	v_add_u32_e32 v2, 2, v30
	v_cmp_eq_u32_e32 vcc, v2, v3
	v_mov_b32_e32 v28, v27
	s_waitcnt lgkmcnt(0)
	v_mov_b32_e32 v39, v37
	s_and_saveexec_b64 s[0:1], vcc
	s_cbranch_execz .LBB6_13
; %bb.12:                               ;   in Loop: Header=BB6_9 Depth=1
	v_lshlrev_b32_e32 v2, 1, v38
	v_add_u32_e32 v38, 1, v38
	v_lshlrev_b32_e32 v28, 2, v38
	ds_read_b32 v29, v28 offset:512
	ds_read_u16 v39, v2
	v_sub_u32_e32 v28, v30, v3
	s_waitcnt lgkmcnt(1)
	v_mov_b32_e32 v3, v29
.LBB6_13:                               ;   in Loop: Header=BB6_9 Depth=1
	s_or_b64 exec, exec, s[0:1]
	v_add_u32_e32 v2, 3, v30
	v_cmp_eq_u32_e32 vcc, v2, v3
	v_mov_b32_e32 v29, v28
	s_waitcnt lgkmcnt(0)
	v_mov_b32_e32 v41, v39
	s_and_saveexec_b64 s[0:1], vcc
	s_cbranch_execz .LBB6_15
; %bb.14:                               ;   in Loop: Header=BB6_9 Depth=1
	v_lshlrev_b32_e32 v2, 2, v38
	v_lshlrev_b32_e32 v29, 1, v38
	ds_read2_b32 v[2:3], v2 offset0:128 offset1:129
	ds_read_u16 v41, v29
	v_add_u32_e32 v38, 1, v38
	s_waitcnt lgkmcnt(1)
	v_sub_u32_e32 v29, v30, v2
.LBB6_15:                               ;   in Loop: Header=BB6_9 Depth=1
	s_or_b64 exec, exec, s[0:1]
	v_add_u32_e32 v2, 4, v30
	v_cmp_eq_u32_e32 vcc, v2, v3
	v_mov_b32_e32 v31, v29
	s_waitcnt lgkmcnt(0)
	v_mov_b32_e32 v43, v41
	s_and_saveexec_b64 s[0:1], vcc
	s_cbranch_execz .LBB6_17
; %bb.16:                               ;   in Loop: Header=BB6_9 Depth=1
	v_lshlrev_b32_e32 v2, 2, v38
	v_lshlrev_b32_e32 v31, 1, v38
	ds_read2_b32 v[2:3], v2 offset0:128 offset1:129
	ds_read_u16 v43, v31
	v_add_u32_e32 v38, 1, v38
	s_waitcnt lgkmcnt(1)
	v_sub_u32_e32 v31, v30, v2
.LBB6_17:                               ;   in Loop: Header=BB6_9 Depth=1
	;; [unrolled: 17-line block ×10, first 2 shown]
	s_or_b64 exec, exec, s[0:1]
	v_add_u32_e32 v2, 13, v30
	v_cmp_eq_u32_e32 vcc, v2, v3
	v_mov_b32_e32 v47, v46
	s_waitcnt lgkmcnt(0)
	v_mov_b32_e32 v55, v54
	s_and_saveexec_b64 s[0:1], vcc
	s_cbranch_execz .LBB6_35
; %bb.34:                               ;   in Loop: Header=BB6_9 Depth=1
	v_lshlrev_b32_e32 v3, 2, v38
	v_lshlrev_b32_e32 v2, 1, v38
	ds_read_b32 v3, v3 offset:512
	ds_read_u16 v55, v2
	s_waitcnt lgkmcnt(1)
	v_sub_u32_e32 v47, v30, v3
.LBB6_35:                               ;   in Loop: Header=BB6_9 Depth=1
	s_or_b64 exec, exec, s[0:1]
	s_lshl_b64 s[0:1], s[28:29], 1
	v_mov_b32_e32 v3, s1
	v_add_co_u32_e32 v2, vcc, s0, v6
	s_min_u32 s26, s31, 0xe00
	v_addc_co_u32_e32 v3, vcc, v7, v3, vcc
	v_cmp_gt_u32_e32 vcc, s26, v0
	s_and_saveexec_b64 s[0:1], vcc
	s_cbranch_execnz .LBB6_64
; %bb.36:                               ;   in Loop: Header=BB6_9 Depth=1
	s_or_b64 exec, exec, s[0:1]
	v_cmp_gt_u32_e64 s[0:1], s26, v8
	s_and_saveexec_b64 s[2:3], s[0:1]
	s_cbranch_execnz .LBB6_65
.LBB6_37:                               ;   in Loop: Header=BB6_9 Depth=1
	s_or_b64 exec, exec, s[2:3]
	v_cmp_gt_u32_e64 s[2:3], s26, v9
	s_and_saveexec_b64 s[4:5], s[2:3]
	s_cbranch_execnz .LBB6_66
.LBB6_38:                               ;   in Loop: Header=BB6_9 Depth=1
	s_or_b64 exec, exec, s[4:5]
	v_cmp_gt_u32_e64 s[4:5], s26, v10
	s_and_saveexec_b64 s[6:7], s[4:5]
	s_cbranch_execnz .LBB6_67
.LBB6_39:                               ;   in Loop: Header=BB6_9 Depth=1
	s_or_b64 exec, exec, s[6:7]
	v_cmp_gt_u32_e64 s[6:7], s26, v11
	s_and_saveexec_b64 s[8:9], s[6:7]
	s_cbranch_execnz .LBB6_68
.LBB6_40:                               ;   in Loop: Header=BB6_9 Depth=1
	s_or_b64 exec, exec, s[8:9]
	v_cmp_gt_u32_e64 s[8:9], s26, v12
	s_and_saveexec_b64 s[10:11], s[8:9]
	s_cbranch_execnz .LBB6_69
.LBB6_41:                               ;   in Loop: Header=BB6_9 Depth=1
	s_or_b64 exec, exec, s[10:11]
	v_cmp_gt_u32_e64 s[10:11], s26, v13
	s_and_saveexec_b64 s[12:13], s[10:11]
	s_cbranch_execnz .LBB6_70
.LBB6_42:                               ;   in Loop: Header=BB6_9 Depth=1
	s_or_b64 exec, exec, s[12:13]
	v_cmp_gt_u32_e64 s[12:13], s26, v14
	s_and_saveexec_b64 s[14:15], s[12:13]
	s_cbranch_execnz .LBB6_71
.LBB6_43:                               ;   in Loop: Header=BB6_9 Depth=1
	s_or_b64 exec, exec, s[14:15]
	v_cmp_gt_u32_e64 s[14:15], s26, v15
	s_and_saveexec_b64 s[16:17], s[14:15]
	s_cbranch_execnz .LBB6_72
.LBB6_44:                               ;   in Loop: Header=BB6_9 Depth=1
	s_or_b64 exec, exec, s[16:17]
	v_cmp_gt_u32_e64 s[16:17], s26, v16
	s_and_saveexec_b64 s[18:19], s[16:17]
	s_cbranch_execnz .LBB6_73
.LBB6_45:                               ;   in Loop: Header=BB6_9 Depth=1
	s_or_b64 exec, exec, s[18:19]
	v_cmp_gt_u32_e64 s[18:19], s26, v17
	s_and_saveexec_b64 s[20:21], s[18:19]
	s_cbranch_execnz .LBB6_74
.LBB6_46:                               ;   in Loop: Header=BB6_9 Depth=1
	s_or_b64 exec, exec, s[20:21]
	v_cmp_gt_u32_e64 s[20:21], s26, v18
	s_and_saveexec_b64 s[22:23], s[20:21]
	s_cbranch_execnz .LBB6_75
.LBB6_47:                               ;   in Loop: Header=BB6_9 Depth=1
	s_or_b64 exec, exec, s[22:23]
	v_cmp_gt_u32_e64 s[22:23], s26, v19
	s_and_saveexec_b64 s[24:25], s[22:23]
	s_cbranch_execnz .LBB6_76
.LBB6_48:                               ;   in Loop: Header=BB6_9 Depth=1
	s_or_b64 exec, exec, s[24:25]
	v_cmp_gt_u32_e64 s[24:25], s26, v20
	s_and_saveexec_b64 s[26:27], s[24:25]
	s_cbranch_execz .LBB6_50
.LBB6_49:                               ;   in Loop: Header=BB6_9 Depth=1
	s_waitcnt lgkmcnt(0)
	global_store_short v[2:3], v55, off offset:26
.LBB6_50:                               ;   in Loop: Header=BB6_9 Depth=1
	s_or_b64 exec, exec, s[26:27]
	s_lshl_b64 s[26:27], s[28:29], 2
	v_mov_b32_e32 v3, s27
	v_add_co_u32_e64 v2, s[26:27], s26, v1
	v_addc_co_u32_e64 v3, s[26:27], v21, v3, s[26:27]
	s_and_saveexec_b64 s[26:27], vcc
	s_cbranch_execnz .LBB6_77
; %bb.51:                               ;   in Loop: Header=BB6_9 Depth=1
	s_or_b64 exec, exec, s[26:27]
	s_and_saveexec_b64 s[26:27], s[0:1]
	s_cbranch_execnz .LBB6_78
.LBB6_52:                               ;   in Loop: Header=BB6_9 Depth=1
	s_or_b64 exec, exec, s[26:27]
	s_and_saveexec_b64 s[0:1], s[2:3]
	s_cbranch_execnz .LBB6_79
.LBB6_53:                               ;   in Loop: Header=BB6_9 Depth=1
	s_or_b64 exec, exec, s[0:1]
	s_and_saveexec_b64 s[0:1], s[4:5]
	s_cbranch_execnz .LBB6_80
.LBB6_54:                               ;   in Loop: Header=BB6_9 Depth=1
	s_or_b64 exec, exec, s[0:1]
	s_and_saveexec_b64 s[0:1], s[6:7]
	s_cbranch_execnz .LBB6_81
.LBB6_55:                               ;   in Loop: Header=BB6_9 Depth=1
	s_or_b64 exec, exec, s[0:1]
	s_and_saveexec_b64 s[0:1], s[8:9]
	s_cbranch_execnz .LBB6_82
.LBB6_56:                               ;   in Loop: Header=BB6_9 Depth=1
	s_or_b64 exec, exec, s[0:1]
	s_and_saveexec_b64 s[0:1], s[10:11]
	s_cbranch_execnz .LBB6_83
.LBB6_57:                               ;   in Loop: Header=BB6_9 Depth=1
	s_or_b64 exec, exec, s[0:1]
	s_and_saveexec_b64 s[0:1], s[12:13]
	s_cbranch_execnz .LBB6_84
.LBB6_58:                               ;   in Loop: Header=BB6_9 Depth=1
	s_or_b64 exec, exec, s[0:1]
	s_and_saveexec_b64 s[0:1], s[14:15]
	s_cbranch_execnz .LBB6_85
.LBB6_59:                               ;   in Loop: Header=BB6_9 Depth=1
	s_or_b64 exec, exec, s[0:1]
	s_and_saveexec_b64 s[0:1], s[16:17]
	s_cbranch_execnz .LBB6_86
.LBB6_60:                               ;   in Loop: Header=BB6_9 Depth=1
	s_or_b64 exec, exec, s[0:1]
	s_and_saveexec_b64 s[0:1], s[18:19]
	s_cbranch_execnz .LBB6_87
.LBB6_61:                               ;   in Loop: Header=BB6_9 Depth=1
	s_or_b64 exec, exec, s[0:1]
	s_and_saveexec_b64 s[0:1], s[20:21]
	s_cbranch_execnz .LBB6_88
.LBB6_62:                               ;   in Loop: Header=BB6_9 Depth=1
	s_or_b64 exec, exec, s[0:1]
	s_and_saveexec_b64 s[0:1], s[22:23]
	s_cbranch_execnz .LBB6_89
.LBB6_63:                               ;   in Loop: Header=BB6_9 Depth=1
	s_or_b64 exec, exec, s[0:1]
	s_and_saveexec_b64 s[0:1], s[24:25]
	s_cbranch_execz .LBB6_8
	s_branch .LBB6_90
.LBB6_64:                               ;   in Loop: Header=BB6_9 Depth=1
	global_store_short v[2:3], v35, off
	s_or_b64 exec, exec, s[0:1]
	v_cmp_gt_u32_e64 s[0:1], s26, v8
	s_and_saveexec_b64 s[2:3], s[0:1]
	s_cbranch_execz .LBB6_37
.LBB6_65:                               ;   in Loop: Header=BB6_9 Depth=1
	global_store_short v[2:3], v37, off offset:2
	s_or_b64 exec, exec, s[2:3]
	v_cmp_gt_u32_e64 s[2:3], s26, v9
	s_and_saveexec_b64 s[4:5], s[2:3]
	s_cbranch_execz .LBB6_38
.LBB6_66:                               ;   in Loop: Header=BB6_9 Depth=1
	global_store_short v[2:3], v39, off offset:4
	s_or_b64 exec, exec, s[4:5]
	v_cmp_gt_u32_e64 s[4:5], s26, v10
	s_and_saveexec_b64 s[6:7], s[4:5]
	s_cbranch_execz .LBB6_39
.LBB6_67:                               ;   in Loop: Header=BB6_9 Depth=1
	global_store_short v[2:3], v41, off offset:6
	s_or_b64 exec, exec, s[6:7]
	v_cmp_gt_u32_e64 s[6:7], s26, v11
	s_and_saveexec_b64 s[8:9], s[6:7]
	s_cbranch_execz .LBB6_40
.LBB6_68:                               ;   in Loop: Header=BB6_9 Depth=1
	global_store_short v[2:3], v43, off offset:8
	s_or_b64 exec, exec, s[8:9]
	v_cmp_gt_u32_e64 s[8:9], s26, v12
	s_and_saveexec_b64 s[10:11], s[8:9]
	s_cbranch_execz .LBB6_41
.LBB6_69:                               ;   in Loop: Header=BB6_9 Depth=1
	global_store_short v[2:3], v45, off offset:10
	s_or_b64 exec, exec, s[10:11]
	v_cmp_gt_u32_e64 s[10:11], s26, v13
	s_and_saveexec_b64 s[12:13], s[10:11]
	s_cbranch_execz .LBB6_42
.LBB6_70:                               ;   in Loop: Header=BB6_9 Depth=1
	global_store_short v[2:3], v48, off offset:12
	s_or_b64 exec, exec, s[12:13]
	v_cmp_gt_u32_e64 s[12:13], s26, v14
	s_and_saveexec_b64 s[14:15], s[12:13]
	s_cbranch_execz .LBB6_43
.LBB6_71:                               ;   in Loop: Header=BB6_9 Depth=1
	global_store_short v[2:3], v49, off offset:14
	s_or_b64 exec, exec, s[14:15]
	v_cmp_gt_u32_e64 s[14:15], s26, v15
	s_and_saveexec_b64 s[16:17], s[14:15]
	s_cbranch_execz .LBB6_44
.LBB6_72:                               ;   in Loop: Header=BB6_9 Depth=1
	global_store_short v[2:3], v50, off offset:16
	s_or_b64 exec, exec, s[16:17]
	v_cmp_gt_u32_e64 s[16:17], s26, v16
	s_and_saveexec_b64 s[18:19], s[16:17]
	s_cbranch_execz .LBB6_45
.LBB6_73:                               ;   in Loop: Header=BB6_9 Depth=1
	global_store_short v[2:3], v51, off offset:18
	s_or_b64 exec, exec, s[18:19]
	v_cmp_gt_u32_e64 s[18:19], s26, v17
	s_and_saveexec_b64 s[20:21], s[18:19]
	s_cbranch_execz .LBB6_46
.LBB6_74:                               ;   in Loop: Header=BB6_9 Depth=1
	global_store_short v[2:3], v52, off offset:20
	s_or_b64 exec, exec, s[20:21]
	v_cmp_gt_u32_e64 s[20:21], s26, v18
	s_and_saveexec_b64 s[22:23], s[20:21]
	s_cbranch_execz .LBB6_47
.LBB6_75:                               ;   in Loop: Header=BB6_9 Depth=1
	global_store_short v[2:3], v53, off offset:22
	s_or_b64 exec, exec, s[22:23]
	v_cmp_gt_u32_e64 s[22:23], s26, v19
	s_and_saveexec_b64 s[24:25], s[22:23]
	s_cbranch_execz .LBB6_48
.LBB6_76:                               ;   in Loop: Header=BB6_9 Depth=1
	global_store_short v[2:3], v54, off offset:24
	s_or_b64 exec, exec, s[24:25]
	v_cmp_gt_u32_e64 s[24:25], s26, v20
	s_and_saveexec_b64 s[26:27], s[24:25]
	s_cbranch_execnz .LBB6_49
	s_branch .LBB6_50
.LBB6_77:                               ;   in Loop: Header=BB6_9 Depth=1
	global_store_dword v[2:3], v26, off
	s_or_b64 exec, exec, s[26:27]
	s_and_saveexec_b64 s[26:27], s[0:1]
	s_cbranch_execz .LBB6_52
.LBB6_78:                               ;   in Loop: Header=BB6_9 Depth=1
	v_add_u32_e32 v26, 1, v27
	global_store_dword v[2:3], v26, off offset:4
	s_or_b64 exec, exec, s[26:27]
	s_and_saveexec_b64 s[0:1], s[2:3]
	s_cbranch_execz .LBB6_53
.LBB6_79:                               ;   in Loop: Header=BB6_9 Depth=1
	v_add_u32_e32 v26, 2, v28
	global_store_dword v[2:3], v26, off offset:8
	s_or_b64 exec, exec, s[0:1]
	s_and_saveexec_b64 s[0:1], s[4:5]
	s_cbranch_execz .LBB6_54
.LBB6_80:                               ;   in Loop: Header=BB6_9 Depth=1
	v_add_u32_e32 v26, 3, v29
	global_store_dword v[2:3], v26, off offset:12
	s_or_b64 exec, exec, s[0:1]
	s_and_saveexec_b64 s[0:1], s[6:7]
	s_cbranch_execz .LBB6_55
.LBB6_81:                               ;   in Loop: Header=BB6_9 Depth=1
	v_add_u32_e32 v26, 4, v31
	global_store_dword v[2:3], v26, off offset:16
	s_or_b64 exec, exec, s[0:1]
	s_and_saveexec_b64 s[0:1], s[8:9]
	s_cbranch_execz .LBB6_56
.LBB6_82:                               ;   in Loop: Header=BB6_9 Depth=1
	v_add_u32_e32 v26, 5, v32
	global_store_dword v[2:3], v26, off offset:20
	s_or_b64 exec, exec, s[0:1]
	s_and_saveexec_b64 s[0:1], s[10:11]
	s_cbranch_execz .LBB6_57
.LBB6_83:                               ;   in Loop: Header=BB6_9 Depth=1
	v_add_u32_e32 v26, 6, v33
	global_store_dword v[2:3], v26, off offset:24
	s_or_b64 exec, exec, s[0:1]
	s_and_saveexec_b64 s[0:1], s[12:13]
	s_cbranch_execz .LBB6_58
.LBB6_84:                               ;   in Loop: Header=BB6_9 Depth=1
	v_add_u32_e32 v26, 7, v34
	global_store_dword v[2:3], v26, off offset:28
	s_or_b64 exec, exec, s[0:1]
	s_and_saveexec_b64 s[0:1], s[14:15]
	s_cbranch_execz .LBB6_59
.LBB6_85:                               ;   in Loop: Header=BB6_9 Depth=1
	v_add_u32_e32 v26, 8, v36
	global_store_dword v[2:3], v26, off offset:32
	s_or_b64 exec, exec, s[0:1]
	s_and_saveexec_b64 s[0:1], s[16:17]
	s_cbranch_execz .LBB6_60
.LBB6_86:                               ;   in Loop: Header=BB6_9 Depth=1
	v_add_u32_e32 v26, 9, v40
	global_store_dword v[2:3], v26, off offset:36
	s_or_b64 exec, exec, s[0:1]
	s_and_saveexec_b64 s[0:1], s[18:19]
	s_cbranch_execz .LBB6_61
.LBB6_87:                               ;   in Loop: Header=BB6_9 Depth=1
	v_add_u32_e32 v26, 10, v42
	global_store_dword v[2:3], v26, off offset:40
	s_or_b64 exec, exec, s[0:1]
	s_and_saveexec_b64 s[0:1], s[20:21]
	s_cbranch_execz .LBB6_62
.LBB6_88:                               ;   in Loop: Header=BB6_9 Depth=1
	v_add_u32_e32 v26, 11, v44
	global_store_dword v[2:3], v26, off offset:44
	s_or_b64 exec, exec, s[0:1]
	s_and_saveexec_b64 s[0:1], s[22:23]
	s_cbranch_execz .LBB6_63
.LBB6_89:                               ;   in Loop: Header=BB6_9 Depth=1
	v_add_u32_e32 v26, 12, v46
	global_store_dword v[2:3], v26, off offset:48
	s_or_b64 exec, exec, s[0:1]
	s_and_saveexec_b64 s[0:1], s[24:25]
	s_cbranch_execz .LBB6_8
.LBB6_90:                               ;   in Loop: Header=BB6_9 Depth=1
	v_add_u32_e32 v26, 13, v47
	global_store_dword v[2:3], v26, off offset:52
	s_branch .LBB6_8
.LBB6_91:
	s_endpgm
	.section	.rodata,"a",@progbits
	.p2align	6, 0x0
	.amdhsa_kernel _Z30block_run_length_decode_kernelI12hip_bfloat16iLj256ELj1ELj14EEvPKT_PKT0_PS1_PS4_
		.amdhsa_group_segment_fixed_size 1536
		.amdhsa_private_segment_fixed_size 0
		.amdhsa_kernarg_size 32
		.amdhsa_user_sgpr_count 6
		.amdhsa_user_sgpr_private_segment_buffer 1
		.amdhsa_user_sgpr_dispatch_ptr 0
		.amdhsa_user_sgpr_queue_ptr 0
		.amdhsa_user_sgpr_kernarg_segment_ptr 1
		.amdhsa_user_sgpr_dispatch_id 0
		.amdhsa_user_sgpr_flat_scratch_init 0
		.amdhsa_user_sgpr_kernarg_preload_length 0
		.amdhsa_user_sgpr_kernarg_preload_offset 0
		.amdhsa_user_sgpr_private_segment_size 0
		.amdhsa_uses_dynamic_stack 0
		.amdhsa_system_sgpr_private_segment_wavefront_offset 0
		.amdhsa_system_sgpr_workgroup_id_x 1
		.amdhsa_system_sgpr_workgroup_id_y 0
		.amdhsa_system_sgpr_workgroup_id_z 0
		.amdhsa_system_sgpr_workgroup_info 0
		.amdhsa_system_vgpr_workitem_id 0
		.amdhsa_next_free_vgpr 56
		.amdhsa_next_free_sgpr 32
		.amdhsa_accum_offset 56
		.amdhsa_reserve_vcc 1
		.amdhsa_reserve_flat_scratch 0
		.amdhsa_float_round_mode_32 0
		.amdhsa_float_round_mode_16_64 0
		.amdhsa_float_denorm_mode_32 3
		.amdhsa_float_denorm_mode_16_64 3
		.amdhsa_dx10_clamp 1
		.amdhsa_ieee_mode 1
		.amdhsa_fp16_overflow 0
		.amdhsa_tg_split 0
		.amdhsa_exception_fp_ieee_invalid_op 0
		.amdhsa_exception_fp_denorm_src 0
		.amdhsa_exception_fp_ieee_div_zero 0
		.amdhsa_exception_fp_ieee_overflow 0
		.amdhsa_exception_fp_ieee_underflow 0
		.amdhsa_exception_fp_ieee_inexact 0
		.amdhsa_exception_int_div_zero 0
	.end_amdhsa_kernel
	.section	.text._Z30block_run_length_decode_kernelI12hip_bfloat16iLj256ELj1ELj14EEvPKT_PKT0_PS1_PS4_,"axG",@progbits,_Z30block_run_length_decode_kernelI12hip_bfloat16iLj256ELj1ELj14EEvPKT_PKT0_PS1_PS4_,comdat
.Lfunc_end6:
	.size	_Z30block_run_length_decode_kernelI12hip_bfloat16iLj256ELj1ELj14EEvPKT_PKT0_PS1_PS4_, .Lfunc_end6-_Z30block_run_length_decode_kernelI12hip_bfloat16iLj256ELj1ELj14EEvPKT_PKT0_PS1_PS4_
                                        ; -- End function
	.section	.AMDGPU.csdata,"",@progbits
; Kernel info:
; codeLenInByte = 3348
; NumSgprs: 36
; NumVgprs: 56
; NumAgprs: 0
; TotalNumVgprs: 56
; ScratchSize: 0
; MemoryBound: 0
; FloatMode: 240
; IeeeMode: 1
; LDSByteSize: 1536 bytes/workgroup (compile time only)
; SGPRBlocks: 4
; VGPRBlocks: 6
; NumSGPRsForWavesPerEU: 36
; NumVGPRsForWavesPerEU: 56
; AccumOffset: 56
; Occupancy: 8
; WaveLimiterHint : 0
; COMPUTE_PGM_RSRC2:SCRATCH_EN: 0
; COMPUTE_PGM_RSRC2:USER_SGPR: 6
; COMPUTE_PGM_RSRC2:TRAP_HANDLER: 0
; COMPUTE_PGM_RSRC2:TGID_X_EN: 1
; COMPUTE_PGM_RSRC2:TGID_Y_EN: 0
; COMPUTE_PGM_RSRC2:TGID_Z_EN: 0
; COMPUTE_PGM_RSRC2:TIDIG_COMP_CNT: 0
; COMPUTE_PGM_RSRC3_GFX90A:ACCUM_OFFSET: 13
; COMPUTE_PGM_RSRC3_GFX90A:TG_SPLIT: 0
	.section	.text._Z30block_run_length_decode_kernelI6__halfiLj256ELj1ELj14EEvPKT_PKT0_PS1_PS4_,"axG",@progbits,_Z30block_run_length_decode_kernelI6__halfiLj256ELj1ELj14EEvPKT_PKT0_PS1_PS4_,comdat
	.protected	_Z30block_run_length_decode_kernelI6__halfiLj256ELj1ELj14EEvPKT_PKT0_PS1_PS4_ ; -- Begin function _Z30block_run_length_decode_kernelI6__halfiLj256ELj1ELj14EEvPKT_PKT0_PS1_PS4_
	.globl	_Z30block_run_length_decode_kernelI6__halfiLj256ELj1ELj14EEvPKT_PKT0_PS1_PS4_
	.p2align	8
	.type	_Z30block_run_length_decode_kernelI6__halfiLj256ELj1ELj14EEvPKT_PKT0_PS1_PS4_,@function
_Z30block_run_length_decode_kernelI6__halfiLj256ELj1ELj14EEvPKT_PKT0_PS1_PS4_: ; @_Z30block_run_length_decode_kernelI6__halfiLj256ELj1ELj14EEvPKT_PKT0_PS1_PS4_
; %bb.0:
	s_load_dwordx8 s[8:15], s[4:5], 0x0
	v_lshl_or_b32 v2, s6, 8, v0
	v_mov_b32_e32 v3, 0
	v_lshlrev_b64 v[4:5], 2, v[2:3]
	s_waitcnt lgkmcnt(0)
	v_mov_b32_e32 v1, s11
	v_add_co_u32_e32 v4, vcc, s10, v4
	v_addc_co_u32_e32 v5, vcc, v1, v5, vcc
	global_load_dword v6, v[4:5], off
	v_lshlrev_b64 v[4:5], 1, v[2:3]
	v_mov_b32_e32 v1, s9
	v_add_co_u32_e32 v4, vcc, s8, v4
	v_addc_co_u32_e32 v5, vcc, v1, v5, vcc
	global_load_ushort v1, v[4:5], off
	v_mbcnt_lo_u32_b32 v3, -1, 0
	v_mbcnt_hi_u32_b32 v3, -1, v3
	v_and_b32_e32 v7, 15, v3
	v_cmp_ne_u32_e32 vcc, 0, v7
	v_bfe_i32 v8, v3, 4, 1
	v_or_b32_e32 v5, 63, v0
	v_lshrrev_b32_e32 v4, 6, v0
	s_waitcnt vmcnt(1)
	v_mov_b32_dpp v9, v6 row_shr:1 row_mask:0xf bank_mask:0xf
	v_cndmask_b32_e32 v9, 0, v9, vcc
	v_add_u32_e32 v6, v9, v6
	v_cmp_lt_u32_e32 vcc, 1, v7
	s_nop 0
	v_mov_b32_dpp v9, v6 row_shr:2 row_mask:0xf bank_mask:0xf
	v_cndmask_b32_e32 v9, 0, v9, vcc
	v_add_u32_e32 v6, v6, v9
	v_cmp_lt_u32_e32 vcc, 3, v7
	s_nop 0
	;; [unrolled: 5-line block ×4, first 2 shown]
	v_mov_b32_dpp v7, v6 row_bcast:15 row_mask:0xf bank_mask:0xf
	v_and_b32_e32 v7, v8, v7
	v_add_u32_e32 v6, v6, v7
	s_nop 1
	v_mov_b32_dpp v7, v6 row_bcast:31 row_mask:0xf bank_mask:0xf
	v_cndmask_b32_e32 v7, 0, v7, vcc
	v_add_u32_e32 v6, v6, v7
	v_cmp_eq_u32_e32 vcc, v5, v0
	s_and_saveexec_b64 s[0:1], vcc
	s_cbranch_execz .LBB7_2
; %bb.1:
	v_lshlrev_b32_e32 v5, 2, v4
	ds_write_b32 v5, v6
.LBB7_2:
	s_or_b64 exec, exec, s[0:1]
	v_cmp_gt_u32_e32 vcc, 4, v0
	v_lshlrev_b32_e32 v5, 2, v0
	s_waitcnt lgkmcnt(0)
	s_barrier
	s_and_saveexec_b64 s[0:1], vcc
	s_cbranch_execz .LBB7_4
; %bb.3:
	ds_read_b32 v7, v5
	v_and_b32_e32 v8, 3, v3
	v_cmp_ne_u32_e32 vcc, 0, v8
	s_waitcnt lgkmcnt(0)
	v_mov_b32_dpp v9, v7 row_shr:1 row_mask:0xf bank_mask:0xf
	v_cndmask_b32_e32 v9, 0, v9, vcc
	v_add_u32_e32 v7, v9, v7
	v_cmp_lt_u32_e32 vcc, 1, v8
	s_nop 0
	v_mov_b32_dpp v9, v7 row_shr:2 row_mask:0xf bank_mask:0xf
	v_cndmask_b32_e32 v8, 0, v9, vcc
	v_add_u32_e32 v7, v7, v8
	ds_write_b32 v5, v7
.LBB7_4:
	s_or_b64 exec, exec, s[0:1]
	v_cmp_lt_u32_e32 vcc, 63, v0
	v_mov_b32_e32 v7, 0
	v_mov_b32_e32 v8, 0
	s_waitcnt lgkmcnt(0)
	s_barrier
	s_and_saveexec_b64 s[0:1], vcc
	s_cbranch_execz .LBB7_6
; %bb.5:
	v_lshl_add_u32 v4, v4, 2, -4
	ds_read_b32 v8, v4
.LBB7_6:
	s_or_b64 exec, exec, s[0:1]
	s_waitcnt lgkmcnt(0)
	v_add_u32_e32 v4, v8, v6
	v_add_u32_e32 v6, -1, v3
	v_and_b32_e32 v9, 64, v3
	v_cmp_lt_i32_e32 vcc, v6, v9
	v_cndmask_b32_e32 v6, v6, v3, vcc
	v_lshlrev_b32_e32 v6, 2, v6
	ds_bpermute_b32 v4, v6, v4
	ds_read_b32 v6, v7 offset:12
	v_cmp_eq_u32_e32 vcc, 0, v3
	s_mov_b32 s29, 0
	s_waitcnt lgkmcnt(0)
	v_cndmask_b32_e32 v3, v4, v8, vcc
	v_cmp_eq_u32_e32 vcc, 0, v6
	v_readfirstlane_b32 s30, v6
	v_lshlrev_b32_e32 v4, 1, v0
	s_and_b64 vcc, exec, vcc
	s_barrier
	s_waitcnt vmcnt(0)
	ds_write_b16 v4, v1
	ds_write_b32 v5, v3 offset:512
	s_waitcnt lgkmcnt(0)
	s_barrier
	s_cbranch_vccnz .LBB7_91
; %bb.7:
	v_mul_u32_u24_e32 v4, 14, v0
	v_mov_b32_e32 v1, 0
	v_mul_lo_u32 v0, v2, 14
	ds_read_b32 v5, v1 offset:1024
	v_lshlrev_b64 v[2:3], 1, v[0:1]
	v_mov_b32_e32 v7, s13
	v_add_co_u32_e32 v6, vcc, s12, v2
	v_addc_co_u32_e32 v7, vcc, v7, v3, vcc
	v_lshlrev_b64 v[2:3], 2, v[0:1]
	v_mov_b32_e32 v21, s15
	v_add_co_u32_e32 v1, vcc, s14, v2
	v_or_b32_e32 v8, 1, v0
	v_add_u32_e32 v9, 2, v0
	v_add_u32_e32 v10, 3, v0
	v_add_u32_e32 v11, 4, v0
	v_add_u32_e32 v12, 5, v0
	v_add_u32_e32 v13, 6, v0
	v_add_u32_e32 v14, 7, v0
	v_add_u32_e32 v15, 8, v0
	v_add_u32_e32 v16, 9, v0
	v_add_u32_e32 v17, 10, v0
	v_add_u32_e32 v18, 11, v0
	v_add_u32_e32 v19, 12, v0
	v_add_u32_e32 v20, 13, v0
	v_addc_co_u32_e32 v21, vcc, v21, v3, vcc
	v_mov_b32_e32 v22, 0x81
	v_mov_b32_e32 v23, 0x100
	;; [unrolled: 1-line block ×4, first 2 shown]
	s_mov_b32 s31, s30
	s_mov_b32 s28, s29
	s_branch .LBB7_9
.LBB7_8:                                ;   in Loop: Header=BB7_9 Depth=1
	s_or_b64 exec, exec, s[0:1]
	s_addk_i32 s28, 0xe00
	s_addk_i32 s31, 0xf200
	s_cmp_lt_u32 s28, s30
	s_cbranch_scc0 .LBB7_91
.LBB7_9:                                ; =>This Inner Loop Header: Depth=1
	v_add_u32_e32 v30, s28, v4
	s_waitcnt lgkmcnt(0)
	v_cmp_gt_u32_e32 vcc, v5, v30
	v_cndmask_b32_e64 v3, v25, 64, vcc
	v_lshlrev_b32_e32 v26, 2, v3
	ds_read_b32 v26, v26 offset:512
	v_cndmask_b32_e64 v2, v22, 0, vcc
	v_cndmask_b32_e32 v27, v23, v24, vcc
	v_or_b32_e32 v28, 1, v3
	s_waitcnt lgkmcnt(0)
	v_cmp_gt_u32_e32 vcc, v26, v30
	v_cndmask_b32_e32 v2, v28, v2, vcc
	v_cndmask_b32_e32 v3, v27, v3, vcc
	v_sub_u32_e32 v26, v3, v2
	v_lshrrev_b16_e32 v27, 15, v26
	v_add_u16_e32 v26, v26, v27
	v_ashrrev_i16_e32 v26, 1, v26
	v_add_u32_sdwa v26, v2, sext(v26) dst_sel:DWORD dst_unused:UNUSED_PAD src0_sel:DWORD src1_sel:WORD_0
	v_min_i32_e32 v26, 0xff, v26
	v_lshlrev_b32_e32 v27, 2, v26
	ds_read_b32 v27, v27 offset:512
	v_add_u32_e32 v28, 1, v26
	s_waitcnt lgkmcnt(0)
	v_cmp_gt_u32_e32 vcc, v27, v30
	v_cndmask_b32_e32 v2, v28, v2, vcc
	v_cndmask_b32_e32 v3, v3, v26, vcc
	v_sub_u32_e32 v26, v3, v2
	v_lshrrev_b16_e32 v27, 15, v26
	v_add_u16_e32 v26, v26, v27
	v_ashrrev_i16_e32 v26, 1, v26
	v_add_u32_sdwa v26, v2, sext(v26) dst_sel:DWORD dst_unused:UNUSED_PAD src0_sel:DWORD src1_sel:WORD_0
	v_min_i32_e32 v26, 0xff, v26
	v_lshlrev_b32_e32 v27, 2, v26
	ds_read_b32 v27, v27 offset:512
	v_add_u32_e32 v28, 1, v26
	;; [unrolled: 13-line block ×7, first 2 shown]
	v_add_u32_e32 v27, 1, v30
	s_waitcnt lgkmcnt(0)
	v_cmp_gt_u32_e32 vcc, v26, v30
	v_cndmask_b32_e32 v43, v3, v2, vcc
	v_lshlrev_b32_e32 v28, 2, v43
	ds_read2_b32 v[2:3], v28 offset0:127 offset1:128
	v_lshl_add_u32 v26, v43, 1, -2
	ds_read_u16 v35, v26
	s_waitcnt lgkmcnt(1)
	v_sub_u32_e32 v26, v30, v2
	v_cmp_eq_u32_e32 vcc, v27, v3
	v_mov_b32_e32 v27, v26
	s_waitcnt lgkmcnt(0)
	v_mov_b32_e32 v36, v35
	s_and_saveexec_b64 s[0:1], vcc
	s_cbranch_execz .LBB7_11
; %bb.10:                               ;   in Loop: Header=BB7_9 Depth=1
	v_lshlrev_b32_e32 v2, 1, v43
	ds_read_b32 v28, v28 offset:516
	ds_read_u16 v36, v2
	v_add_u32_e32 v43, 1, v43
	v_sub_u32_e32 v27, v30, v3
	s_waitcnt lgkmcnt(1)
	v_mov_b32_e32 v3, v28
.LBB7_11:                               ;   in Loop: Header=BB7_9 Depth=1
	s_or_b64 exec, exec, s[0:1]
	v_add_u32_e32 v2, 2, v30
	v_cmp_eq_u32_e32 vcc, v2, v3
	v_mov_b32_e32 v28, v27
	s_waitcnt lgkmcnt(0)
	v_mov_b32_e32 v38, v36
	s_and_saveexec_b64 s[0:1], vcc
	s_cbranch_execz .LBB7_13
; %bb.12:                               ;   in Loop: Header=BB7_9 Depth=1
	v_add_u32_e32 v2, 1, v43
	v_lshlrev_b32_e32 v28, 2, v2
	v_lshlrev_b32_e32 v29, 1, v43
	ds_read_b32 v31, v28 offset:512
	ds_read_u16 v38, v29
	v_sub_u32_e32 v28, v30, v3
	v_mov_b32_e32 v43, v2
	s_waitcnt lgkmcnt(1)
	v_mov_b32_e32 v3, v31
.LBB7_13:                               ;   in Loop: Header=BB7_9 Depth=1
	s_or_b64 exec, exec, s[0:1]
	v_add_u32_e32 v2, 3, v30
	v_cmp_eq_u32_e32 vcc, v2, v3
	v_mov_b32_e32 v29, v28
	s_waitcnt lgkmcnt(0)
	v_mov_b32_e32 v40, v38
	s_and_saveexec_b64 s[0:1], vcc
	s_cbranch_execz .LBB7_15
; %bb.14:                               ;   in Loop: Header=BB7_9 Depth=1
	v_lshlrev_b32_e32 v2, 2, v43
	ds_read2_b32 v[2:3], v2 offset0:128 offset1:129
	v_lshlrev_b32_e32 v29, 1, v43
	ds_read_u16 v40, v29
	v_add_u32_e32 v43, 1, v43
	s_waitcnt lgkmcnt(1)
	v_sub_u32_e32 v29, v30, v2
.LBB7_15:                               ;   in Loop: Header=BB7_9 Depth=1
	s_or_b64 exec, exec, s[0:1]
	v_add_u32_e32 v2, 4, v30
	v_cmp_eq_u32_e32 vcc, v2, v3
	v_mov_b32_e32 v31, v29
	s_waitcnt lgkmcnt(0)
	v_mov_b32_e32 v42, v40
	s_and_saveexec_b64 s[0:1], vcc
	s_cbranch_execz .LBB7_17
; %bb.16:                               ;   in Loop: Header=BB7_9 Depth=1
	v_lshlrev_b32_e32 v2, 2, v43
	ds_read2_b32 v[2:3], v2 offset0:128 offset1:129
	v_lshlrev_b32_e32 v31, 1, v43
	ds_read_u16 v42, v31
	v_add_u32_e32 v43, 1, v43
	s_waitcnt lgkmcnt(1)
	v_sub_u32_e32 v31, v30, v2
.LBB7_17:                               ;   in Loop: Header=BB7_9 Depth=1
	;; [unrolled: 17-line block ×10, first 2 shown]
	s_or_b64 exec, exec, s[0:1]
	v_add_u32_e32 v2, 13, v30
	v_cmp_eq_u32_e32 vcc, v2, v3
	v_mov_b32_e32 v48, v46
	s_waitcnt lgkmcnt(0)
	v_mov_b32_e32 v55, v54
	s_and_saveexec_b64 s[0:1], vcc
	s_cbranch_execz .LBB7_35
; %bb.34:                               ;   in Loop: Header=BB7_9 Depth=1
	v_lshlrev_b32_e32 v2, 2, v43
	v_lshlrev_b32_e32 v3, 1, v43
	ds_read_b32 v2, v2 offset:512
	ds_read_u16 v55, v3
	s_waitcnt lgkmcnt(1)
	v_sub_u32_e32 v48, v30, v2
.LBB7_35:                               ;   in Loop: Header=BB7_9 Depth=1
	s_or_b64 exec, exec, s[0:1]
	s_lshl_b64 s[0:1], s[28:29], 1
	v_mov_b32_e32 v3, s1
	v_add_co_u32_e32 v2, vcc, s0, v6
	s_min_u32 s26, s31, 0xe00
	v_addc_co_u32_e32 v3, vcc, v7, v3, vcc
	v_cmp_gt_u32_e32 vcc, s26, v0
	s_and_saveexec_b64 s[0:1], vcc
	s_cbranch_execnz .LBB7_64
; %bb.36:                               ;   in Loop: Header=BB7_9 Depth=1
	s_or_b64 exec, exec, s[0:1]
	v_cmp_gt_u32_e64 s[0:1], s26, v8
	s_and_saveexec_b64 s[2:3], s[0:1]
	s_cbranch_execnz .LBB7_65
.LBB7_37:                               ;   in Loop: Header=BB7_9 Depth=1
	s_or_b64 exec, exec, s[2:3]
	v_cmp_gt_u32_e64 s[2:3], s26, v9
	s_and_saveexec_b64 s[4:5], s[2:3]
	s_cbranch_execnz .LBB7_66
.LBB7_38:                               ;   in Loop: Header=BB7_9 Depth=1
	s_or_b64 exec, exec, s[4:5]
	v_cmp_gt_u32_e64 s[4:5], s26, v10
	s_and_saveexec_b64 s[6:7], s[4:5]
	s_cbranch_execnz .LBB7_67
.LBB7_39:                               ;   in Loop: Header=BB7_9 Depth=1
	s_or_b64 exec, exec, s[6:7]
	v_cmp_gt_u32_e64 s[6:7], s26, v11
	s_and_saveexec_b64 s[8:9], s[6:7]
	s_cbranch_execnz .LBB7_68
.LBB7_40:                               ;   in Loop: Header=BB7_9 Depth=1
	s_or_b64 exec, exec, s[8:9]
	v_cmp_gt_u32_e64 s[8:9], s26, v12
	s_and_saveexec_b64 s[10:11], s[8:9]
	s_cbranch_execnz .LBB7_69
.LBB7_41:                               ;   in Loop: Header=BB7_9 Depth=1
	s_or_b64 exec, exec, s[10:11]
	v_cmp_gt_u32_e64 s[10:11], s26, v13
	s_and_saveexec_b64 s[12:13], s[10:11]
	s_cbranch_execnz .LBB7_70
.LBB7_42:                               ;   in Loop: Header=BB7_9 Depth=1
	s_or_b64 exec, exec, s[12:13]
	v_cmp_gt_u32_e64 s[12:13], s26, v14
	s_and_saveexec_b64 s[14:15], s[12:13]
	s_cbranch_execnz .LBB7_71
.LBB7_43:                               ;   in Loop: Header=BB7_9 Depth=1
	s_or_b64 exec, exec, s[14:15]
	v_cmp_gt_u32_e64 s[14:15], s26, v15
	s_and_saveexec_b64 s[16:17], s[14:15]
	s_cbranch_execnz .LBB7_72
.LBB7_44:                               ;   in Loop: Header=BB7_9 Depth=1
	s_or_b64 exec, exec, s[16:17]
	v_cmp_gt_u32_e64 s[16:17], s26, v16
	s_and_saveexec_b64 s[18:19], s[16:17]
	s_cbranch_execnz .LBB7_73
.LBB7_45:                               ;   in Loop: Header=BB7_9 Depth=1
	s_or_b64 exec, exec, s[18:19]
	v_cmp_gt_u32_e64 s[18:19], s26, v17
	s_and_saveexec_b64 s[20:21], s[18:19]
	s_cbranch_execnz .LBB7_74
.LBB7_46:                               ;   in Loop: Header=BB7_9 Depth=1
	s_or_b64 exec, exec, s[20:21]
	v_cmp_gt_u32_e64 s[20:21], s26, v18
	s_and_saveexec_b64 s[22:23], s[20:21]
	s_cbranch_execnz .LBB7_75
.LBB7_47:                               ;   in Loop: Header=BB7_9 Depth=1
	s_or_b64 exec, exec, s[22:23]
	v_cmp_gt_u32_e64 s[22:23], s26, v19
	s_and_saveexec_b64 s[24:25], s[22:23]
	s_cbranch_execnz .LBB7_76
.LBB7_48:                               ;   in Loop: Header=BB7_9 Depth=1
	s_or_b64 exec, exec, s[24:25]
	v_cmp_gt_u32_e64 s[24:25], s26, v20
	s_and_saveexec_b64 s[26:27], s[24:25]
	s_cbranch_execz .LBB7_50
.LBB7_49:                               ;   in Loop: Header=BB7_9 Depth=1
	s_waitcnt lgkmcnt(0)
	global_store_short v[2:3], v55, off offset:26
.LBB7_50:                               ;   in Loop: Header=BB7_9 Depth=1
	s_or_b64 exec, exec, s[26:27]
	s_lshl_b64 s[26:27], s[28:29], 2
	v_mov_b32_e32 v3, s27
	v_add_co_u32_e64 v2, s[26:27], s26, v1
	v_addc_co_u32_e64 v3, s[26:27], v21, v3, s[26:27]
	s_and_saveexec_b64 s[26:27], vcc
	s_cbranch_execnz .LBB7_77
; %bb.51:                               ;   in Loop: Header=BB7_9 Depth=1
	s_or_b64 exec, exec, s[26:27]
	s_and_saveexec_b64 s[26:27], s[0:1]
	s_cbranch_execnz .LBB7_78
.LBB7_52:                               ;   in Loop: Header=BB7_9 Depth=1
	s_or_b64 exec, exec, s[26:27]
	s_and_saveexec_b64 s[0:1], s[2:3]
	s_cbranch_execnz .LBB7_79
.LBB7_53:                               ;   in Loop: Header=BB7_9 Depth=1
	s_or_b64 exec, exec, s[0:1]
	s_and_saveexec_b64 s[0:1], s[4:5]
	s_cbranch_execnz .LBB7_80
.LBB7_54:                               ;   in Loop: Header=BB7_9 Depth=1
	s_or_b64 exec, exec, s[0:1]
	s_and_saveexec_b64 s[0:1], s[6:7]
	s_cbranch_execnz .LBB7_81
.LBB7_55:                               ;   in Loop: Header=BB7_9 Depth=1
	s_or_b64 exec, exec, s[0:1]
	s_and_saveexec_b64 s[0:1], s[8:9]
	s_cbranch_execnz .LBB7_82
.LBB7_56:                               ;   in Loop: Header=BB7_9 Depth=1
	s_or_b64 exec, exec, s[0:1]
	s_and_saveexec_b64 s[0:1], s[10:11]
	s_cbranch_execnz .LBB7_83
.LBB7_57:                               ;   in Loop: Header=BB7_9 Depth=1
	s_or_b64 exec, exec, s[0:1]
	s_and_saveexec_b64 s[0:1], s[12:13]
	s_cbranch_execnz .LBB7_84
.LBB7_58:                               ;   in Loop: Header=BB7_9 Depth=1
	s_or_b64 exec, exec, s[0:1]
	s_and_saveexec_b64 s[0:1], s[14:15]
	s_cbranch_execnz .LBB7_85
.LBB7_59:                               ;   in Loop: Header=BB7_9 Depth=1
	s_or_b64 exec, exec, s[0:1]
	s_and_saveexec_b64 s[0:1], s[16:17]
	s_cbranch_execnz .LBB7_86
.LBB7_60:                               ;   in Loop: Header=BB7_9 Depth=1
	s_or_b64 exec, exec, s[0:1]
	s_and_saveexec_b64 s[0:1], s[18:19]
	s_cbranch_execnz .LBB7_87
.LBB7_61:                               ;   in Loop: Header=BB7_9 Depth=1
	s_or_b64 exec, exec, s[0:1]
	s_and_saveexec_b64 s[0:1], s[20:21]
	s_cbranch_execnz .LBB7_88
.LBB7_62:                               ;   in Loop: Header=BB7_9 Depth=1
	s_or_b64 exec, exec, s[0:1]
	s_and_saveexec_b64 s[0:1], s[22:23]
	s_cbranch_execnz .LBB7_89
.LBB7_63:                               ;   in Loop: Header=BB7_9 Depth=1
	s_or_b64 exec, exec, s[0:1]
	s_and_saveexec_b64 s[0:1], s[24:25]
	s_cbranch_execz .LBB7_8
	s_branch .LBB7_90
.LBB7_64:                               ;   in Loop: Header=BB7_9 Depth=1
	global_store_short v[2:3], v35, off
	s_or_b64 exec, exec, s[0:1]
	v_cmp_gt_u32_e64 s[0:1], s26, v8
	s_and_saveexec_b64 s[2:3], s[0:1]
	s_cbranch_execz .LBB7_37
.LBB7_65:                               ;   in Loop: Header=BB7_9 Depth=1
	global_store_short v[2:3], v36, off offset:2
	s_or_b64 exec, exec, s[2:3]
	v_cmp_gt_u32_e64 s[2:3], s26, v9
	s_and_saveexec_b64 s[4:5], s[2:3]
	s_cbranch_execz .LBB7_38
.LBB7_66:                               ;   in Loop: Header=BB7_9 Depth=1
	global_store_short v[2:3], v38, off offset:4
	s_or_b64 exec, exec, s[4:5]
	v_cmp_gt_u32_e64 s[4:5], s26, v10
	s_and_saveexec_b64 s[6:7], s[4:5]
	s_cbranch_execz .LBB7_39
.LBB7_67:                               ;   in Loop: Header=BB7_9 Depth=1
	global_store_short v[2:3], v40, off offset:6
	s_or_b64 exec, exec, s[6:7]
	v_cmp_gt_u32_e64 s[6:7], s26, v11
	s_and_saveexec_b64 s[8:9], s[6:7]
	s_cbranch_execz .LBB7_40
.LBB7_68:                               ;   in Loop: Header=BB7_9 Depth=1
	global_store_short v[2:3], v42, off offset:8
	s_or_b64 exec, exec, s[8:9]
	v_cmp_gt_u32_e64 s[8:9], s26, v12
	s_and_saveexec_b64 s[10:11], s[8:9]
	s_cbranch_execz .LBB7_41
.LBB7_69:                               ;   in Loop: Header=BB7_9 Depth=1
	global_store_short v[2:3], v45, off offset:10
	s_or_b64 exec, exec, s[10:11]
	v_cmp_gt_u32_e64 s[10:11], s26, v13
	s_and_saveexec_b64 s[12:13], s[10:11]
	s_cbranch_execz .LBB7_42
.LBB7_70:                               ;   in Loop: Header=BB7_9 Depth=1
	global_store_short v[2:3], v47, off offset:12
	s_or_b64 exec, exec, s[12:13]
	v_cmp_gt_u32_e64 s[12:13], s26, v14
	s_and_saveexec_b64 s[14:15], s[12:13]
	s_cbranch_execz .LBB7_43
.LBB7_71:                               ;   in Loop: Header=BB7_9 Depth=1
	global_store_short v[2:3], v49, off offset:14
	s_or_b64 exec, exec, s[14:15]
	v_cmp_gt_u32_e64 s[14:15], s26, v15
	s_and_saveexec_b64 s[16:17], s[14:15]
	s_cbranch_execz .LBB7_44
.LBB7_72:                               ;   in Loop: Header=BB7_9 Depth=1
	global_store_short v[2:3], v50, off offset:16
	s_or_b64 exec, exec, s[16:17]
	v_cmp_gt_u32_e64 s[16:17], s26, v16
	s_and_saveexec_b64 s[18:19], s[16:17]
	s_cbranch_execz .LBB7_45
.LBB7_73:                               ;   in Loop: Header=BB7_9 Depth=1
	global_store_short v[2:3], v51, off offset:18
	s_or_b64 exec, exec, s[18:19]
	v_cmp_gt_u32_e64 s[18:19], s26, v17
	s_and_saveexec_b64 s[20:21], s[18:19]
	s_cbranch_execz .LBB7_46
.LBB7_74:                               ;   in Loop: Header=BB7_9 Depth=1
	global_store_short v[2:3], v52, off offset:20
	s_or_b64 exec, exec, s[20:21]
	v_cmp_gt_u32_e64 s[20:21], s26, v18
	s_and_saveexec_b64 s[22:23], s[20:21]
	s_cbranch_execz .LBB7_47
.LBB7_75:                               ;   in Loop: Header=BB7_9 Depth=1
	global_store_short v[2:3], v53, off offset:22
	s_or_b64 exec, exec, s[22:23]
	v_cmp_gt_u32_e64 s[22:23], s26, v19
	s_and_saveexec_b64 s[24:25], s[22:23]
	s_cbranch_execz .LBB7_48
.LBB7_76:                               ;   in Loop: Header=BB7_9 Depth=1
	global_store_short v[2:3], v54, off offset:24
	s_or_b64 exec, exec, s[24:25]
	v_cmp_gt_u32_e64 s[24:25], s26, v20
	s_and_saveexec_b64 s[26:27], s[24:25]
	s_cbranch_execnz .LBB7_49
	s_branch .LBB7_50
.LBB7_77:                               ;   in Loop: Header=BB7_9 Depth=1
	global_store_dword v[2:3], v26, off
	s_or_b64 exec, exec, s[26:27]
	s_and_saveexec_b64 s[26:27], s[0:1]
	s_cbranch_execz .LBB7_52
.LBB7_78:                               ;   in Loop: Header=BB7_9 Depth=1
	v_add_u32_e32 v26, 1, v27
	global_store_dword v[2:3], v26, off offset:4
	s_or_b64 exec, exec, s[26:27]
	s_and_saveexec_b64 s[0:1], s[2:3]
	s_cbranch_execz .LBB7_53
.LBB7_79:                               ;   in Loop: Header=BB7_9 Depth=1
	v_add_u32_e32 v26, 2, v28
	global_store_dword v[2:3], v26, off offset:8
	s_or_b64 exec, exec, s[0:1]
	s_and_saveexec_b64 s[0:1], s[4:5]
	s_cbranch_execz .LBB7_54
.LBB7_80:                               ;   in Loop: Header=BB7_9 Depth=1
	v_add_u32_e32 v26, 3, v29
	global_store_dword v[2:3], v26, off offset:12
	s_or_b64 exec, exec, s[0:1]
	s_and_saveexec_b64 s[0:1], s[6:7]
	s_cbranch_execz .LBB7_55
.LBB7_81:                               ;   in Loop: Header=BB7_9 Depth=1
	v_add_u32_e32 v26, 4, v31
	global_store_dword v[2:3], v26, off offset:16
	s_or_b64 exec, exec, s[0:1]
	s_and_saveexec_b64 s[0:1], s[8:9]
	s_cbranch_execz .LBB7_56
.LBB7_82:                               ;   in Loop: Header=BB7_9 Depth=1
	v_add_u32_e32 v26, 5, v32
	global_store_dword v[2:3], v26, off offset:20
	s_or_b64 exec, exec, s[0:1]
	s_and_saveexec_b64 s[0:1], s[10:11]
	s_cbranch_execz .LBB7_57
.LBB7_83:                               ;   in Loop: Header=BB7_9 Depth=1
	v_add_u32_e32 v26, 6, v33
	global_store_dword v[2:3], v26, off offset:24
	s_or_b64 exec, exec, s[0:1]
	s_and_saveexec_b64 s[0:1], s[12:13]
	s_cbranch_execz .LBB7_58
.LBB7_84:                               ;   in Loop: Header=BB7_9 Depth=1
	v_add_u32_e32 v26, 7, v34
	global_store_dword v[2:3], v26, off offset:28
	s_or_b64 exec, exec, s[0:1]
	s_and_saveexec_b64 s[0:1], s[14:15]
	s_cbranch_execz .LBB7_59
.LBB7_85:                               ;   in Loop: Header=BB7_9 Depth=1
	v_add_u32_e32 v26, 8, v37
	global_store_dword v[2:3], v26, off offset:32
	s_or_b64 exec, exec, s[0:1]
	s_and_saveexec_b64 s[0:1], s[16:17]
	s_cbranch_execz .LBB7_60
.LBB7_86:                               ;   in Loop: Header=BB7_9 Depth=1
	v_add_u32_e32 v26, 9, v39
	global_store_dword v[2:3], v26, off offset:36
	s_or_b64 exec, exec, s[0:1]
	s_and_saveexec_b64 s[0:1], s[18:19]
	s_cbranch_execz .LBB7_61
.LBB7_87:                               ;   in Loop: Header=BB7_9 Depth=1
	v_add_u32_e32 v26, 10, v41
	global_store_dword v[2:3], v26, off offset:40
	s_or_b64 exec, exec, s[0:1]
	s_and_saveexec_b64 s[0:1], s[20:21]
	s_cbranch_execz .LBB7_62
.LBB7_88:                               ;   in Loop: Header=BB7_9 Depth=1
	v_add_u32_e32 v26, 11, v44
	global_store_dword v[2:3], v26, off offset:44
	s_or_b64 exec, exec, s[0:1]
	s_and_saveexec_b64 s[0:1], s[22:23]
	s_cbranch_execz .LBB7_63
.LBB7_89:                               ;   in Loop: Header=BB7_9 Depth=1
	v_add_u32_e32 v26, 12, v46
	global_store_dword v[2:3], v26, off offset:48
	s_or_b64 exec, exec, s[0:1]
	s_and_saveexec_b64 s[0:1], s[24:25]
	s_cbranch_execz .LBB7_8
.LBB7_90:                               ;   in Loop: Header=BB7_9 Depth=1
	v_add_u32_e32 v26, 13, v48
	global_store_dword v[2:3], v26, off offset:52
	s_branch .LBB7_8
.LBB7_91:
	s_endpgm
	.section	.rodata,"a",@progbits
	.p2align	6, 0x0
	.amdhsa_kernel _Z30block_run_length_decode_kernelI6__halfiLj256ELj1ELj14EEvPKT_PKT0_PS1_PS4_
		.amdhsa_group_segment_fixed_size 1536
		.amdhsa_private_segment_fixed_size 0
		.amdhsa_kernarg_size 32
		.amdhsa_user_sgpr_count 6
		.amdhsa_user_sgpr_private_segment_buffer 1
		.amdhsa_user_sgpr_dispatch_ptr 0
		.amdhsa_user_sgpr_queue_ptr 0
		.amdhsa_user_sgpr_kernarg_segment_ptr 1
		.amdhsa_user_sgpr_dispatch_id 0
		.amdhsa_user_sgpr_flat_scratch_init 0
		.amdhsa_user_sgpr_kernarg_preload_length 0
		.amdhsa_user_sgpr_kernarg_preload_offset 0
		.amdhsa_user_sgpr_private_segment_size 0
		.amdhsa_uses_dynamic_stack 0
		.amdhsa_system_sgpr_private_segment_wavefront_offset 0
		.amdhsa_system_sgpr_workgroup_id_x 1
		.amdhsa_system_sgpr_workgroup_id_y 0
		.amdhsa_system_sgpr_workgroup_id_z 0
		.amdhsa_system_sgpr_workgroup_info 0
		.amdhsa_system_vgpr_workitem_id 0
		.amdhsa_next_free_vgpr 56
		.amdhsa_next_free_sgpr 32
		.amdhsa_accum_offset 56
		.amdhsa_reserve_vcc 1
		.amdhsa_reserve_flat_scratch 0
		.amdhsa_float_round_mode_32 0
		.amdhsa_float_round_mode_16_64 0
		.amdhsa_float_denorm_mode_32 3
		.amdhsa_float_denorm_mode_16_64 3
		.amdhsa_dx10_clamp 1
		.amdhsa_ieee_mode 1
		.amdhsa_fp16_overflow 0
		.amdhsa_tg_split 0
		.amdhsa_exception_fp_ieee_invalid_op 0
		.amdhsa_exception_fp_denorm_src 0
		.amdhsa_exception_fp_ieee_div_zero 0
		.amdhsa_exception_fp_ieee_overflow 0
		.amdhsa_exception_fp_ieee_underflow 0
		.amdhsa_exception_fp_ieee_inexact 0
		.amdhsa_exception_int_div_zero 0
	.end_amdhsa_kernel
	.section	.text._Z30block_run_length_decode_kernelI6__halfiLj256ELj1ELj14EEvPKT_PKT0_PS1_PS4_,"axG",@progbits,_Z30block_run_length_decode_kernelI6__halfiLj256ELj1ELj14EEvPKT_PKT0_PS1_PS4_,comdat
.Lfunc_end7:
	.size	_Z30block_run_length_decode_kernelI6__halfiLj256ELj1ELj14EEvPKT_PKT0_PS1_PS4_, .Lfunc_end7-_Z30block_run_length_decode_kernelI6__halfiLj256ELj1ELj14EEvPKT_PKT0_PS1_PS4_
                                        ; -- End function
	.section	.AMDGPU.csdata,"",@progbits
; Kernel info:
; codeLenInByte = 3352
; NumSgprs: 36
; NumVgprs: 56
; NumAgprs: 0
; TotalNumVgprs: 56
; ScratchSize: 0
; MemoryBound: 0
; FloatMode: 240
; IeeeMode: 1
; LDSByteSize: 1536 bytes/workgroup (compile time only)
; SGPRBlocks: 4
; VGPRBlocks: 6
; NumSGPRsForWavesPerEU: 36
; NumVGPRsForWavesPerEU: 56
; AccumOffset: 56
; Occupancy: 8
; WaveLimiterHint : 0
; COMPUTE_PGM_RSRC2:SCRATCH_EN: 0
; COMPUTE_PGM_RSRC2:USER_SGPR: 6
; COMPUTE_PGM_RSRC2:TRAP_HANDLER: 0
; COMPUTE_PGM_RSRC2:TGID_X_EN: 1
; COMPUTE_PGM_RSRC2:TGID_Y_EN: 0
; COMPUTE_PGM_RSRC2:TGID_Z_EN: 0
; COMPUTE_PGM_RSRC2:TIDIG_COMP_CNT: 0
; COMPUTE_PGM_RSRC3_GFX90A:ACCUM_OFFSET: 13
; COMPUTE_PGM_RSRC3_GFX90A:TG_SPLIT: 0
	.section	.text._Z30block_run_length_decode_kernelIfiLj256ELj1ELj14EEvPKT_PKT0_PS0_PS3_,"axG",@progbits,_Z30block_run_length_decode_kernelIfiLj256ELj1ELj14EEvPKT_PKT0_PS0_PS3_,comdat
	.protected	_Z30block_run_length_decode_kernelIfiLj256ELj1ELj14EEvPKT_PKT0_PS0_PS3_ ; -- Begin function _Z30block_run_length_decode_kernelIfiLj256ELj1ELj14EEvPKT_PKT0_PS0_PS3_
	.globl	_Z30block_run_length_decode_kernelIfiLj256ELj1ELj14EEvPKT_PKT0_PS0_PS3_
	.p2align	8
	.type	_Z30block_run_length_decode_kernelIfiLj256ELj1ELj14EEvPKT_PKT0_PS0_PS3_,@function
_Z30block_run_length_decode_kernelIfiLj256ELj1ELj14EEvPKT_PKT0_PS0_PS3_: ; @_Z30block_run_length_decode_kernelIfiLj256ELj1ELj14EEvPKT_PKT0_PS0_PS3_
; %bb.0:
	s_load_dwordx8 s[8:15], s[4:5], 0x0
	v_lshl_or_b32 v2, s6, 8, v0
	v_mov_b32_e32 v3, 0
	v_lshlrev_b64 v[4:5], 2, v[2:3]
	v_mbcnt_lo_u32_b32 v3, -1, 0
	s_waitcnt lgkmcnt(0)
	v_mov_b32_e32 v1, s11
	v_add_co_u32_e32 v6, vcc, s10, v4
	v_addc_co_u32_e32 v7, vcc, v1, v5, vcc
	global_load_dword v6, v[6:7], off
	v_mov_b32_e32 v1, s9
	v_add_co_u32_e32 v4, vcc, s8, v4
	v_addc_co_u32_e32 v5, vcc, v1, v5, vcc
	global_load_dword v1, v[4:5], off
	v_mbcnt_hi_u32_b32 v3, -1, v3
	v_and_b32_e32 v7, 15, v3
	v_cmp_ne_u32_e32 vcc, 0, v7
	v_bfe_i32 v8, v3, 4, 1
	v_or_b32_e32 v5, 63, v0
	v_lshrrev_b32_e32 v4, 6, v0
	s_waitcnt vmcnt(1)
	v_mov_b32_dpp v9, v6 row_shr:1 row_mask:0xf bank_mask:0xf
	v_cndmask_b32_e32 v9, 0, v9, vcc
	v_add_u32_e32 v6, v9, v6
	v_cmp_lt_u32_e32 vcc, 1, v7
	s_nop 0
	v_mov_b32_dpp v9, v6 row_shr:2 row_mask:0xf bank_mask:0xf
	v_cndmask_b32_e32 v9, 0, v9, vcc
	v_add_u32_e32 v6, v6, v9
	v_cmp_lt_u32_e32 vcc, 3, v7
	s_nop 0
	;; [unrolled: 5-line block ×4, first 2 shown]
	v_mov_b32_dpp v7, v6 row_bcast:15 row_mask:0xf bank_mask:0xf
	v_and_b32_e32 v7, v8, v7
	v_add_u32_e32 v6, v6, v7
	s_nop 1
	v_mov_b32_dpp v7, v6 row_bcast:31 row_mask:0xf bank_mask:0xf
	v_cndmask_b32_e32 v7, 0, v7, vcc
	v_add_u32_e32 v6, v6, v7
	v_cmp_eq_u32_e32 vcc, v5, v0
	s_and_saveexec_b64 s[0:1], vcc
	s_cbranch_execz .LBB8_2
; %bb.1:
	v_lshlrev_b32_e32 v5, 2, v4
	ds_write_b32 v5, v6
.LBB8_2:
	s_or_b64 exec, exec, s[0:1]
	v_cmp_gt_u32_e32 vcc, 4, v0
	v_lshlrev_b32_e32 v5, 2, v0
	s_waitcnt lgkmcnt(0)
	s_barrier
	s_and_saveexec_b64 s[0:1], vcc
	s_cbranch_execz .LBB8_4
; %bb.3:
	ds_read_b32 v7, v5
	v_and_b32_e32 v8, 3, v3
	v_cmp_ne_u32_e32 vcc, 0, v8
	s_waitcnt lgkmcnt(0)
	v_mov_b32_dpp v9, v7 row_shr:1 row_mask:0xf bank_mask:0xf
	v_cndmask_b32_e32 v9, 0, v9, vcc
	v_add_u32_e32 v7, v9, v7
	v_cmp_lt_u32_e32 vcc, 1, v8
	s_nop 0
	v_mov_b32_dpp v9, v7 row_shr:2 row_mask:0xf bank_mask:0xf
	v_cndmask_b32_e32 v8, 0, v9, vcc
	v_add_u32_e32 v7, v7, v8
	ds_write_b32 v5, v7
.LBB8_4:
	s_or_b64 exec, exec, s[0:1]
	v_cmp_lt_u32_e32 vcc, 63, v0
	v_mov_b32_e32 v7, 0
	v_mov_b32_e32 v8, 0
	s_waitcnt lgkmcnt(0)
	s_barrier
	s_and_saveexec_b64 s[0:1], vcc
	s_cbranch_execz .LBB8_6
; %bb.5:
	v_lshl_add_u32 v4, v4, 2, -4
	ds_read_b32 v8, v4
.LBB8_6:
	s_or_b64 exec, exec, s[0:1]
	s_waitcnt lgkmcnt(0)
	v_add_u32_e32 v4, v8, v6
	v_add_u32_e32 v6, -1, v3
	v_and_b32_e32 v9, 64, v3
	v_cmp_lt_i32_e32 vcc, v6, v9
	v_cndmask_b32_e32 v6, v6, v3, vcc
	v_lshlrev_b32_e32 v6, 2, v6
	ds_bpermute_b32 v4, v6, v4
	ds_read_b32 v6, v7 offset:12
	v_cmp_eq_u32_e32 vcc, 0, v3
	s_mov_b32 s29, 0
	s_waitcnt lgkmcnt(0)
	v_cndmask_b32_e32 v3, v4, v8, vcc
	v_cmp_eq_u32_e32 vcc, 0, v6
	v_readfirstlane_b32 s33, v6
	s_and_b64 vcc, exec, vcc
	s_barrier
	s_waitcnt vmcnt(0)
	ds_write2st64_b32 v5, v1, v3 offset1:4
	s_waitcnt lgkmcnt(0)
	s_barrier
	s_cbranch_vccnz .LBB8_91
; %bb.7:
	v_mul_u32_u24_e32 v6, 14, v0
	v_mov_b32_e32 v1, 0
	v_mul_lo_u32 v0, v2, 14
	ds_read_b32 v7, v1 offset:1536
	v_lshlrev_b64 v[2:3], 2, v[0:1]
	v_mov_b32_e32 v4, s13
	v_add_co_u32_e32 v1, vcc, s12, v2
	v_addc_co_u32_e32 v8, vcc, v4, v3, vcc
	v_mov_b32_e32 v4, s15
	v_add_co_u32_e32 v22, vcc, s14, v2
	v_or_b32_e32 v9, 1, v0
	v_add_u32_e32 v10, 2, v0
	v_add_u32_e32 v11, 3, v0
	;; [unrolled: 1-line block ×12, first 2 shown]
	v_addc_co_u32_e32 v23, vcc, v4, v3, vcc
	v_mov_b32_e32 v24, 0x81
	v_mov_b32_e32 v25, 0x100
	;; [unrolled: 1-line block ×4, first 2 shown]
	s_mov_b32 s34, s33
	s_mov_b32 s28, s29
	s_branch .LBB8_9
.LBB8_8:                                ;   in Loop: Header=BB8_9 Depth=1
	s_or_b64 exec, exec, s[0:1]
	s_addk_i32 s28, 0xe00
	s_addk_i32 s34, 0xf200
	s_cmp_lt_u32 s28, s33
	s_cbranch_scc0 .LBB8_91
.LBB8_9:                                ; =>This Inner Loop Header: Depth=1
	v_add_u32_e32 v4, s28, v6
	s_waitcnt lgkmcnt(0)
	v_cmp_gt_u32_e32 vcc, v7, v4
	v_cndmask_b32_e64 v3, v27, 64, vcc
	v_lshlrev_b32_e32 v5, 2, v3
	ds_read_b32 v5, v5 offset:1024
	v_cndmask_b32_e64 v2, v24, 0, vcc
	v_cndmask_b32_e32 v28, v25, v26, vcc
	v_or_b32_e32 v29, 1, v3
	s_waitcnt lgkmcnt(0)
	v_cmp_gt_u32_e32 vcc, v5, v4
	v_cndmask_b32_e32 v2, v29, v2, vcc
	v_cndmask_b32_e32 v3, v28, v3, vcc
	v_sub_u32_e32 v5, v3, v2
	v_lshrrev_b16_e32 v28, 15, v5
	v_add_u16_e32 v5, v5, v28
	v_ashrrev_i16_e32 v5, 1, v5
	v_add_u32_sdwa v5, v2, sext(v5) dst_sel:DWORD dst_unused:UNUSED_PAD src0_sel:DWORD src1_sel:WORD_0
	v_min_i32_e32 v5, 0xff, v5
	v_lshlrev_b32_e32 v28, 2, v5
	ds_read_b32 v28, v28 offset:1024
	v_add_u32_e32 v29, 1, v5
	s_waitcnt lgkmcnt(0)
	v_cmp_gt_u32_e32 vcc, v28, v4
	v_cndmask_b32_e32 v2, v29, v2, vcc
	v_cndmask_b32_e32 v3, v3, v5, vcc
	v_sub_u32_e32 v5, v3, v2
	v_lshrrev_b16_e32 v28, 15, v5
	v_add_u16_e32 v5, v5, v28
	v_ashrrev_i16_e32 v5, 1, v5
	v_add_u32_sdwa v5, v2, sext(v5) dst_sel:DWORD dst_unused:UNUSED_PAD src0_sel:DWORD src1_sel:WORD_0
	v_min_i32_e32 v5, 0xff, v5
	v_lshlrev_b32_e32 v28, 2, v5
	ds_read_b32 v28, v28 offset:1024
	v_add_u32_e32 v29, 1, v5
	;; [unrolled: 13-line block ×7, first 2 shown]
	s_waitcnt lgkmcnt(0)
	v_cmp_gt_u32_e32 vcc, v5, v4
	v_cndmask_b32_e32 v5, v3, v2, vcc
	v_lshlrev_b32_e32 v30, 2, v5
	v_add_u32_e32 v2, 0x3fc, v30
	ds_read2_b32 v[2:3], v2 offset1:1
	v_add_u32_e32 v28, -4, v30
	ds_read_b32 v36, v28
	v_add_u32_e32 v28, 1, v4
	s_waitcnt lgkmcnt(1)
	v_sub_u32_e32 v29, v4, v2
	v_cmp_eq_u32_e32 vcc, v28, v3
	v_mov_b32_e32 v28, v29
	s_waitcnt lgkmcnt(0)
	v_mov_b32_e32 v37, v36
	s_and_saveexec_b64 s[0:1], vcc
	s_cbranch_execz .LBB8_11
; %bb.10:                               ;   in Loop: Header=BB8_9 Depth=1
	ds_read_b32 v2, v30 offset:1028
	ds_read_b32 v37, v30
	v_add_u32_e32 v5, 1, v5
	v_sub_u32_e32 v28, v4, v3
	s_waitcnt lgkmcnt(1)
	v_mov_b32_e32 v3, v2
.LBB8_11:                               ;   in Loop: Header=BB8_9 Depth=1
	s_or_b64 exec, exec, s[0:1]
	v_add_u32_e32 v2, 2, v4
	v_cmp_eq_u32_e32 vcc, v2, v3
	v_mov_b32_e32 v30, v28
	s_waitcnt lgkmcnt(0)
	v_mov_b32_e32 v39, v37
	s_and_saveexec_b64 s[0:1], vcc
	s_cbranch_execz .LBB8_13
; %bb.12:                               ;   in Loop: Header=BB8_9 Depth=1
	v_lshlrev_b32_e32 v2, 2, v5
	ds_read_b32 v31, v2 offset:1028
	ds_read_b32 v39, v2
	v_add_u32_e32 v5, 1, v5
	v_sub_u32_e32 v30, v4, v3
	s_waitcnt lgkmcnt(1)
	v_mov_b32_e32 v3, v31
.LBB8_13:                               ;   in Loop: Header=BB8_9 Depth=1
	s_or_b64 exec, exec, s[0:1]
	v_add_u32_e32 v2, 3, v4
	v_cmp_eq_u32_e32 vcc, v2, v3
	v_mov_b32_e32 v31, v30
	s_waitcnt lgkmcnt(0)
	v_mov_b32_e32 v41, v39
	s_and_saveexec_b64 s[0:1], vcc
	s_cbranch_execz .LBB8_15
; %bb.14:                               ;   in Loop: Header=BB8_9 Depth=1
	v_lshlrev_b32_e32 v31, 2, v5
	v_add_u32_e32 v2, 0x400, v31
	ds_read2_b32 v[2:3], v2 offset1:1
	ds_read_b32 v41, v31
	v_add_u32_e32 v5, 1, v5
	s_waitcnt lgkmcnt(1)
	v_sub_u32_e32 v31, v4, v2
.LBB8_15:                               ;   in Loop: Header=BB8_9 Depth=1
	s_or_b64 exec, exec, s[0:1]
	v_add_u32_e32 v2, 4, v4
	v_cmp_eq_u32_e32 vcc, v2, v3
	v_mov_b32_e32 v32, v31
	s_waitcnt lgkmcnt(0)
	v_mov_b32_e32 v43, v41
	s_and_saveexec_b64 s[0:1], vcc
	s_cbranch_execz .LBB8_17
; %bb.16:                               ;   in Loop: Header=BB8_9 Depth=1
	v_lshlrev_b32_e32 v32, 2, v5
	v_add_u32_e32 v2, 0x400, v32
	ds_read2_b32 v[2:3], v2 offset1:1
	ds_read_b32 v43, v32
	v_add_u32_e32 v5, 1, v5
	s_waitcnt lgkmcnt(1)
	v_sub_u32_e32 v32, v4, v2
.LBB8_17:                               ;   in Loop: Header=BB8_9 Depth=1
	;; [unrolled: 17-line block ×10, first 2 shown]
	s_or_b64 exec, exec, s[0:1]
	v_add_u32_e32 v2, 13, v4
	v_cmp_eq_u32_e32 vcc, v2, v3
	v_mov_b32_e32 v47, v46
	s_waitcnt lgkmcnt(0)
	v_mov_b32_e32 v2, v54
	s_and_saveexec_b64 s[0:1], vcc
	s_cbranch_execz .LBB8_35
; %bb.34:                               ;   in Loop: Header=BB8_9 Depth=1
	v_lshlrev_b32_e32 v2, 2, v5
	ds_read2st64_b32 v[2:3], v2 offset1:4
	s_waitcnt lgkmcnt(0)
	v_sub_u32_e32 v47, v4, v3
.LBB8_35:                               ;   in Loop: Header=BB8_9 Depth=1
	s_or_b64 exec, exec, s[0:1]
	s_lshl_b64 s[26:27], s[28:29], 2
	v_mov_b32_e32 v3, s27
	v_add_co_u32_e32 v4, vcc, s26, v1
	s_min_u32 s30, s34, 0xe00
	v_addc_co_u32_e32 v5, vcc, v8, v3, vcc
	v_cmp_gt_u32_e32 vcc, s30, v0
	s_and_saveexec_b64 s[0:1], vcc
	s_cbranch_execnz .LBB8_64
; %bb.36:                               ;   in Loop: Header=BB8_9 Depth=1
	s_or_b64 exec, exec, s[0:1]
	v_cmp_gt_u32_e64 s[0:1], s30, v9
	s_and_saveexec_b64 s[2:3], s[0:1]
	s_cbranch_execnz .LBB8_65
.LBB8_37:                               ;   in Loop: Header=BB8_9 Depth=1
	s_or_b64 exec, exec, s[2:3]
	v_cmp_gt_u32_e64 s[2:3], s30, v10
	s_and_saveexec_b64 s[4:5], s[2:3]
	s_cbranch_execnz .LBB8_66
.LBB8_38:                               ;   in Loop: Header=BB8_9 Depth=1
	s_or_b64 exec, exec, s[4:5]
	v_cmp_gt_u32_e64 s[4:5], s30, v11
	s_and_saveexec_b64 s[6:7], s[4:5]
	s_cbranch_execnz .LBB8_67
.LBB8_39:                               ;   in Loop: Header=BB8_9 Depth=1
	s_or_b64 exec, exec, s[6:7]
	v_cmp_gt_u32_e64 s[6:7], s30, v12
	s_and_saveexec_b64 s[8:9], s[6:7]
	s_cbranch_execnz .LBB8_68
.LBB8_40:                               ;   in Loop: Header=BB8_9 Depth=1
	s_or_b64 exec, exec, s[8:9]
	v_cmp_gt_u32_e64 s[8:9], s30, v13
	s_and_saveexec_b64 s[10:11], s[8:9]
	s_cbranch_execnz .LBB8_69
.LBB8_41:                               ;   in Loop: Header=BB8_9 Depth=1
	s_or_b64 exec, exec, s[10:11]
	v_cmp_gt_u32_e64 s[10:11], s30, v14
	s_and_saveexec_b64 s[12:13], s[10:11]
	s_cbranch_execnz .LBB8_70
.LBB8_42:                               ;   in Loop: Header=BB8_9 Depth=1
	s_or_b64 exec, exec, s[12:13]
	v_cmp_gt_u32_e64 s[12:13], s30, v15
	s_and_saveexec_b64 s[14:15], s[12:13]
	s_cbranch_execnz .LBB8_71
.LBB8_43:                               ;   in Loop: Header=BB8_9 Depth=1
	s_or_b64 exec, exec, s[14:15]
	v_cmp_gt_u32_e64 s[14:15], s30, v16
	s_and_saveexec_b64 s[16:17], s[14:15]
	s_cbranch_execnz .LBB8_72
.LBB8_44:                               ;   in Loop: Header=BB8_9 Depth=1
	s_or_b64 exec, exec, s[16:17]
	v_cmp_gt_u32_e64 s[16:17], s30, v17
	s_and_saveexec_b64 s[18:19], s[16:17]
	s_cbranch_execnz .LBB8_73
.LBB8_45:                               ;   in Loop: Header=BB8_9 Depth=1
	s_or_b64 exec, exec, s[18:19]
	v_cmp_gt_u32_e64 s[18:19], s30, v18
	s_and_saveexec_b64 s[20:21], s[18:19]
	s_cbranch_execnz .LBB8_74
.LBB8_46:                               ;   in Loop: Header=BB8_9 Depth=1
	s_or_b64 exec, exec, s[20:21]
	v_cmp_gt_u32_e64 s[20:21], s30, v19
	s_and_saveexec_b64 s[22:23], s[20:21]
	s_cbranch_execnz .LBB8_75
.LBB8_47:                               ;   in Loop: Header=BB8_9 Depth=1
	s_or_b64 exec, exec, s[22:23]
	v_cmp_gt_u32_e64 s[22:23], s30, v20
	s_and_saveexec_b64 s[24:25], s[22:23]
	s_cbranch_execnz .LBB8_76
.LBB8_48:                               ;   in Loop: Header=BB8_9 Depth=1
	s_or_b64 exec, exec, s[24:25]
	v_cmp_gt_u32_e64 s[24:25], s30, v21
	s_and_saveexec_b64 s[30:31], s[24:25]
	s_cbranch_execz .LBB8_50
.LBB8_49:                               ;   in Loop: Header=BB8_9 Depth=1
	global_store_dword v[4:5], v2, off offset:52
.LBB8_50:                               ;   in Loop: Header=BB8_9 Depth=1
	s_or_b64 exec, exec, s[30:31]
	v_mov_b32_e32 v3, s27
	v_add_co_u32_e64 v2, s[26:27], s26, v22
	v_addc_co_u32_e64 v3, s[26:27], v23, v3, s[26:27]
	s_and_saveexec_b64 s[26:27], vcc
	s_cbranch_execnz .LBB8_77
; %bb.51:                               ;   in Loop: Header=BB8_9 Depth=1
	s_or_b64 exec, exec, s[26:27]
	s_and_saveexec_b64 s[26:27], s[0:1]
	s_cbranch_execnz .LBB8_78
.LBB8_52:                               ;   in Loop: Header=BB8_9 Depth=1
	s_or_b64 exec, exec, s[26:27]
	s_and_saveexec_b64 s[0:1], s[2:3]
	s_cbranch_execnz .LBB8_79
.LBB8_53:                               ;   in Loop: Header=BB8_9 Depth=1
	s_or_b64 exec, exec, s[0:1]
	s_and_saveexec_b64 s[0:1], s[4:5]
	s_cbranch_execnz .LBB8_80
.LBB8_54:                               ;   in Loop: Header=BB8_9 Depth=1
	s_or_b64 exec, exec, s[0:1]
	s_and_saveexec_b64 s[0:1], s[6:7]
	s_cbranch_execnz .LBB8_81
.LBB8_55:                               ;   in Loop: Header=BB8_9 Depth=1
	s_or_b64 exec, exec, s[0:1]
	s_and_saveexec_b64 s[0:1], s[8:9]
	s_cbranch_execnz .LBB8_82
.LBB8_56:                               ;   in Loop: Header=BB8_9 Depth=1
	s_or_b64 exec, exec, s[0:1]
	s_and_saveexec_b64 s[0:1], s[10:11]
	s_cbranch_execnz .LBB8_83
.LBB8_57:                               ;   in Loop: Header=BB8_9 Depth=1
	s_or_b64 exec, exec, s[0:1]
	s_and_saveexec_b64 s[0:1], s[12:13]
	s_cbranch_execnz .LBB8_84
.LBB8_58:                               ;   in Loop: Header=BB8_9 Depth=1
	s_or_b64 exec, exec, s[0:1]
	s_and_saveexec_b64 s[0:1], s[14:15]
	s_cbranch_execnz .LBB8_85
.LBB8_59:                               ;   in Loop: Header=BB8_9 Depth=1
	s_or_b64 exec, exec, s[0:1]
	s_and_saveexec_b64 s[0:1], s[16:17]
	s_cbranch_execnz .LBB8_86
.LBB8_60:                               ;   in Loop: Header=BB8_9 Depth=1
	s_or_b64 exec, exec, s[0:1]
	s_and_saveexec_b64 s[0:1], s[18:19]
	s_cbranch_execnz .LBB8_87
.LBB8_61:                               ;   in Loop: Header=BB8_9 Depth=1
	s_or_b64 exec, exec, s[0:1]
	s_and_saveexec_b64 s[0:1], s[20:21]
	s_cbranch_execnz .LBB8_88
.LBB8_62:                               ;   in Loop: Header=BB8_9 Depth=1
	s_or_b64 exec, exec, s[0:1]
	s_and_saveexec_b64 s[0:1], s[22:23]
	s_cbranch_execnz .LBB8_89
.LBB8_63:                               ;   in Loop: Header=BB8_9 Depth=1
	s_or_b64 exec, exec, s[0:1]
	s_and_saveexec_b64 s[0:1], s[24:25]
	s_cbranch_execz .LBB8_8
	s_branch .LBB8_90
.LBB8_64:                               ;   in Loop: Header=BB8_9 Depth=1
	global_store_dword v[4:5], v36, off
	s_or_b64 exec, exec, s[0:1]
	v_cmp_gt_u32_e64 s[0:1], s30, v9
	s_and_saveexec_b64 s[2:3], s[0:1]
	s_cbranch_execz .LBB8_37
.LBB8_65:                               ;   in Loop: Header=BB8_9 Depth=1
	global_store_dword v[4:5], v37, off offset:4
	s_or_b64 exec, exec, s[2:3]
	v_cmp_gt_u32_e64 s[2:3], s30, v10
	s_and_saveexec_b64 s[4:5], s[2:3]
	s_cbranch_execz .LBB8_38
.LBB8_66:                               ;   in Loop: Header=BB8_9 Depth=1
	global_store_dword v[4:5], v39, off offset:8
	s_or_b64 exec, exec, s[4:5]
	v_cmp_gt_u32_e64 s[4:5], s30, v11
	s_and_saveexec_b64 s[6:7], s[4:5]
	s_cbranch_execz .LBB8_39
.LBB8_67:                               ;   in Loop: Header=BB8_9 Depth=1
	global_store_dword v[4:5], v41, off offset:12
	s_or_b64 exec, exec, s[6:7]
	v_cmp_gt_u32_e64 s[6:7], s30, v12
	s_and_saveexec_b64 s[8:9], s[6:7]
	s_cbranch_execz .LBB8_40
.LBB8_68:                               ;   in Loop: Header=BB8_9 Depth=1
	global_store_dword v[4:5], v43, off offset:16
	s_or_b64 exec, exec, s[8:9]
	v_cmp_gt_u32_e64 s[8:9], s30, v13
	s_and_saveexec_b64 s[10:11], s[8:9]
	s_cbranch_execz .LBB8_41
.LBB8_69:                               ;   in Loop: Header=BB8_9 Depth=1
	global_store_dword v[4:5], v45, off offset:20
	s_or_b64 exec, exec, s[10:11]
	v_cmp_gt_u32_e64 s[10:11], s30, v14
	s_and_saveexec_b64 s[12:13], s[10:11]
	s_cbranch_execz .LBB8_42
.LBB8_70:                               ;   in Loop: Header=BB8_9 Depth=1
	global_store_dword v[4:5], v48, off offset:24
	s_or_b64 exec, exec, s[12:13]
	v_cmp_gt_u32_e64 s[12:13], s30, v15
	s_and_saveexec_b64 s[14:15], s[12:13]
	s_cbranch_execz .LBB8_43
.LBB8_71:                               ;   in Loop: Header=BB8_9 Depth=1
	global_store_dword v[4:5], v49, off offset:28
	s_or_b64 exec, exec, s[14:15]
	v_cmp_gt_u32_e64 s[14:15], s30, v16
	s_and_saveexec_b64 s[16:17], s[14:15]
	s_cbranch_execz .LBB8_44
.LBB8_72:                               ;   in Loop: Header=BB8_9 Depth=1
	global_store_dword v[4:5], v50, off offset:32
	s_or_b64 exec, exec, s[16:17]
	v_cmp_gt_u32_e64 s[16:17], s30, v17
	s_and_saveexec_b64 s[18:19], s[16:17]
	s_cbranch_execz .LBB8_45
.LBB8_73:                               ;   in Loop: Header=BB8_9 Depth=1
	global_store_dword v[4:5], v51, off offset:36
	s_or_b64 exec, exec, s[18:19]
	v_cmp_gt_u32_e64 s[18:19], s30, v18
	s_and_saveexec_b64 s[20:21], s[18:19]
	s_cbranch_execz .LBB8_46
.LBB8_74:                               ;   in Loop: Header=BB8_9 Depth=1
	global_store_dword v[4:5], v52, off offset:40
	s_or_b64 exec, exec, s[20:21]
	v_cmp_gt_u32_e64 s[20:21], s30, v19
	s_and_saveexec_b64 s[22:23], s[20:21]
	s_cbranch_execz .LBB8_47
.LBB8_75:                               ;   in Loop: Header=BB8_9 Depth=1
	global_store_dword v[4:5], v53, off offset:44
	s_or_b64 exec, exec, s[22:23]
	v_cmp_gt_u32_e64 s[22:23], s30, v20
	s_and_saveexec_b64 s[24:25], s[22:23]
	s_cbranch_execz .LBB8_48
.LBB8_76:                               ;   in Loop: Header=BB8_9 Depth=1
	global_store_dword v[4:5], v54, off offset:48
	s_or_b64 exec, exec, s[24:25]
	v_cmp_gt_u32_e64 s[24:25], s30, v21
	s_and_saveexec_b64 s[30:31], s[24:25]
	s_cbranch_execnz .LBB8_49
	s_branch .LBB8_50
.LBB8_77:                               ;   in Loop: Header=BB8_9 Depth=1
	global_store_dword v[2:3], v29, off
	s_or_b64 exec, exec, s[26:27]
	s_and_saveexec_b64 s[26:27], s[0:1]
	s_cbranch_execz .LBB8_52
.LBB8_78:                               ;   in Loop: Header=BB8_9 Depth=1
	v_add_u32_e32 v4, 1, v28
	global_store_dword v[2:3], v4, off offset:4
	s_or_b64 exec, exec, s[26:27]
	s_and_saveexec_b64 s[0:1], s[2:3]
	s_cbranch_execz .LBB8_53
.LBB8_79:                               ;   in Loop: Header=BB8_9 Depth=1
	v_add_u32_e32 v4, 2, v30
	global_store_dword v[2:3], v4, off offset:8
	s_or_b64 exec, exec, s[0:1]
	s_and_saveexec_b64 s[0:1], s[4:5]
	s_cbranch_execz .LBB8_54
.LBB8_80:                               ;   in Loop: Header=BB8_9 Depth=1
	v_add_u32_e32 v4, 3, v31
	global_store_dword v[2:3], v4, off offset:12
	s_or_b64 exec, exec, s[0:1]
	s_and_saveexec_b64 s[0:1], s[6:7]
	s_cbranch_execz .LBB8_55
.LBB8_81:                               ;   in Loop: Header=BB8_9 Depth=1
	v_add_u32_e32 v4, 4, v32
	global_store_dword v[2:3], v4, off offset:16
	s_or_b64 exec, exec, s[0:1]
	s_and_saveexec_b64 s[0:1], s[8:9]
	s_cbranch_execz .LBB8_56
.LBB8_82:                               ;   in Loop: Header=BB8_9 Depth=1
	v_add_u32_e32 v4, 5, v33
	global_store_dword v[2:3], v4, off offset:20
	s_or_b64 exec, exec, s[0:1]
	s_and_saveexec_b64 s[0:1], s[10:11]
	s_cbranch_execz .LBB8_57
.LBB8_83:                               ;   in Loop: Header=BB8_9 Depth=1
	v_add_u32_e32 v4, 6, v34
	global_store_dword v[2:3], v4, off offset:24
	s_or_b64 exec, exec, s[0:1]
	s_and_saveexec_b64 s[0:1], s[12:13]
	s_cbranch_execz .LBB8_58
.LBB8_84:                               ;   in Loop: Header=BB8_9 Depth=1
	v_add_u32_e32 v4, 7, v35
	global_store_dword v[2:3], v4, off offset:28
	s_or_b64 exec, exec, s[0:1]
	s_and_saveexec_b64 s[0:1], s[14:15]
	s_cbranch_execz .LBB8_59
.LBB8_85:                               ;   in Loop: Header=BB8_9 Depth=1
	v_add_u32_e32 v4, 8, v38
	global_store_dword v[2:3], v4, off offset:32
	s_or_b64 exec, exec, s[0:1]
	s_and_saveexec_b64 s[0:1], s[16:17]
	s_cbranch_execz .LBB8_60
.LBB8_86:                               ;   in Loop: Header=BB8_9 Depth=1
	v_add_u32_e32 v4, 9, v40
	global_store_dword v[2:3], v4, off offset:36
	s_or_b64 exec, exec, s[0:1]
	s_and_saveexec_b64 s[0:1], s[18:19]
	s_cbranch_execz .LBB8_61
.LBB8_87:                               ;   in Loop: Header=BB8_9 Depth=1
	v_add_u32_e32 v4, 10, v42
	global_store_dword v[2:3], v4, off offset:40
	s_or_b64 exec, exec, s[0:1]
	s_and_saveexec_b64 s[0:1], s[20:21]
	s_cbranch_execz .LBB8_62
.LBB8_88:                               ;   in Loop: Header=BB8_9 Depth=1
	v_add_u32_e32 v4, 11, v44
	global_store_dword v[2:3], v4, off offset:44
	s_or_b64 exec, exec, s[0:1]
	s_and_saveexec_b64 s[0:1], s[22:23]
	s_cbranch_execz .LBB8_63
.LBB8_89:                               ;   in Loop: Header=BB8_9 Depth=1
	v_add_u32_e32 v4, 12, v46
	global_store_dword v[2:3], v4, off offset:48
	s_or_b64 exec, exec, s[0:1]
	s_and_saveexec_b64 s[0:1], s[24:25]
	s_cbranch_execz .LBB8_8
.LBB8_90:                               ;   in Loop: Header=BB8_9 Depth=1
	v_add_u32_e32 v4, 13, v47
	global_store_dword v[2:3], v4, off offset:52
	s_branch .LBB8_8
.LBB8_91:
	s_endpgm
	.section	.rodata,"a",@progbits
	.p2align	6, 0x0
	.amdhsa_kernel _Z30block_run_length_decode_kernelIfiLj256ELj1ELj14EEvPKT_PKT0_PS0_PS3_
		.amdhsa_group_segment_fixed_size 2048
		.amdhsa_private_segment_fixed_size 0
		.amdhsa_kernarg_size 32
		.amdhsa_user_sgpr_count 6
		.amdhsa_user_sgpr_private_segment_buffer 1
		.amdhsa_user_sgpr_dispatch_ptr 0
		.amdhsa_user_sgpr_queue_ptr 0
		.amdhsa_user_sgpr_kernarg_segment_ptr 1
		.amdhsa_user_sgpr_dispatch_id 0
		.amdhsa_user_sgpr_flat_scratch_init 0
		.amdhsa_user_sgpr_kernarg_preload_length 0
		.amdhsa_user_sgpr_kernarg_preload_offset 0
		.amdhsa_user_sgpr_private_segment_size 0
		.amdhsa_uses_dynamic_stack 0
		.amdhsa_system_sgpr_private_segment_wavefront_offset 0
		.amdhsa_system_sgpr_workgroup_id_x 1
		.amdhsa_system_sgpr_workgroup_id_y 0
		.amdhsa_system_sgpr_workgroup_id_z 0
		.amdhsa_system_sgpr_workgroup_info 0
		.amdhsa_system_vgpr_workitem_id 0
		.amdhsa_next_free_vgpr 55
		.amdhsa_next_free_sgpr 35
		.amdhsa_accum_offset 56
		.amdhsa_reserve_vcc 1
		.amdhsa_reserve_flat_scratch 0
		.amdhsa_float_round_mode_32 0
		.amdhsa_float_round_mode_16_64 0
		.amdhsa_float_denorm_mode_32 3
		.amdhsa_float_denorm_mode_16_64 3
		.amdhsa_dx10_clamp 1
		.amdhsa_ieee_mode 1
		.amdhsa_fp16_overflow 0
		.amdhsa_tg_split 0
		.amdhsa_exception_fp_ieee_invalid_op 0
		.amdhsa_exception_fp_denorm_src 0
		.amdhsa_exception_fp_ieee_div_zero 0
		.amdhsa_exception_fp_ieee_overflow 0
		.amdhsa_exception_fp_ieee_underflow 0
		.amdhsa_exception_fp_ieee_inexact 0
		.amdhsa_exception_int_div_zero 0
	.end_amdhsa_kernel
	.section	.text._Z30block_run_length_decode_kernelIfiLj256ELj1ELj14EEvPKT_PKT0_PS0_PS3_,"axG",@progbits,_Z30block_run_length_decode_kernelIfiLj256ELj1ELj14EEvPKT_PKT0_PS0_PS3_,comdat
.Lfunc_end8:
	.size	_Z30block_run_length_decode_kernelIfiLj256ELj1ELj14EEvPKT_PKT0_PS0_PS3_, .Lfunc_end8-_Z30block_run_length_decode_kernelIfiLj256ELj1ELj14EEvPKT_PKT0_PS0_PS3_
                                        ; -- End function
	.section	.AMDGPU.csdata,"",@progbits
; Kernel info:
; codeLenInByte = 3336
; NumSgprs: 39
; NumVgprs: 55
; NumAgprs: 0
; TotalNumVgprs: 55
; ScratchSize: 0
; MemoryBound: 0
; FloatMode: 240
; IeeeMode: 1
; LDSByteSize: 2048 bytes/workgroup (compile time only)
; SGPRBlocks: 4
; VGPRBlocks: 6
; NumSGPRsForWavesPerEU: 39
; NumVGPRsForWavesPerEU: 55
; AccumOffset: 56
; Occupancy: 8
; WaveLimiterHint : 0
; COMPUTE_PGM_RSRC2:SCRATCH_EN: 0
; COMPUTE_PGM_RSRC2:USER_SGPR: 6
; COMPUTE_PGM_RSRC2:TRAP_HANDLER: 0
; COMPUTE_PGM_RSRC2:TGID_X_EN: 1
; COMPUTE_PGM_RSRC2:TGID_Y_EN: 0
; COMPUTE_PGM_RSRC2:TGID_Z_EN: 0
; COMPUTE_PGM_RSRC2:TIDIG_COMP_CNT: 0
; COMPUTE_PGM_RSRC3_GFX90A:ACCUM_OFFSET: 13
; COMPUTE_PGM_RSRC3_GFX90A:TG_SPLIT: 0
	.section	.text._Z30block_run_length_decode_kernelIcxLj256ELj1ELj14EEvPKT_PKT0_PS0_PS3_,"axG",@progbits,_Z30block_run_length_decode_kernelIcxLj256ELj1ELj14EEvPKT_PKT0_PS0_PS3_,comdat
	.protected	_Z30block_run_length_decode_kernelIcxLj256ELj1ELj14EEvPKT_PKT0_PS0_PS3_ ; -- Begin function _Z30block_run_length_decode_kernelIcxLj256ELj1ELj14EEvPKT_PKT0_PS0_PS3_
	.globl	_Z30block_run_length_decode_kernelIcxLj256ELj1ELj14EEvPKT_PKT0_PS0_PS3_
	.p2align	8
	.type	_Z30block_run_length_decode_kernelIcxLj256ELj1ELj14EEvPKT_PKT0_PS0_PS3_,@function
_Z30block_run_length_decode_kernelIcxLj256ELj1ELj14EEvPKT_PKT0_PS0_PS3_: ; @_Z30block_run_length_decode_kernelIcxLj256ELj1ELj14EEvPKT_PKT0_PS0_PS3_
; %bb.0:
	s_load_dwordx8 s[8:15], s[4:5], 0x0
	v_lshl_or_b32 v2, s6, 8, v0
	v_mov_b32_e32 v3, 0
	v_lshlrev_b64 v[4:5], 3, v[2:3]
	v_mbcnt_lo_u32_b32 v3, -1, 0
	s_waitcnt lgkmcnt(0)
	v_mov_b32_e32 v1, s11
	v_add_co_u32_e32 v4, vcc, s10, v4
	v_addc_co_u32_e32 v5, vcc, v1, v5, vcc
	global_load_dword v6, v[4:5], off
	global_load_ubyte v1, v2, s[8:9]
	v_mbcnt_hi_u32_b32 v3, -1, v3
	v_and_b32_e32 v7, 15, v3
	v_cmp_ne_u32_e32 vcc, 0, v7
	v_bfe_i32 v8, v3, 4, 1
	v_or_b32_e32 v5, 63, v0
	v_lshrrev_b32_e32 v4, 6, v0
	s_waitcnt vmcnt(1)
	v_mov_b32_dpp v9, v6 row_shr:1 row_mask:0xf bank_mask:0xf
	v_cndmask_b32_e32 v9, 0, v9, vcc
	v_add_u32_e32 v6, v9, v6
	v_cmp_lt_u32_e32 vcc, 1, v7
	s_nop 0
	v_mov_b32_dpp v9, v6 row_shr:2 row_mask:0xf bank_mask:0xf
	v_cndmask_b32_e32 v9, 0, v9, vcc
	v_add_u32_e32 v6, v6, v9
	v_cmp_lt_u32_e32 vcc, 3, v7
	s_nop 0
	;; [unrolled: 5-line block ×4, first 2 shown]
	v_mov_b32_dpp v7, v6 row_bcast:15 row_mask:0xf bank_mask:0xf
	v_and_b32_e32 v7, v8, v7
	v_add_u32_e32 v6, v6, v7
	s_nop 1
	v_mov_b32_dpp v7, v6 row_bcast:31 row_mask:0xf bank_mask:0xf
	v_cndmask_b32_e32 v7, 0, v7, vcc
	v_add_u32_e32 v6, v6, v7
	v_cmp_eq_u32_e32 vcc, v5, v0
	s_and_saveexec_b64 s[0:1], vcc
	s_cbranch_execz .LBB9_2
; %bb.1:
	v_lshlrev_b32_e32 v5, 2, v4
	ds_write_b32 v5, v6
.LBB9_2:
	s_or_b64 exec, exec, s[0:1]
	v_cmp_gt_u32_e32 vcc, 4, v0
	v_lshlrev_b32_e32 v5, 2, v0
	s_waitcnt lgkmcnt(0)
	s_barrier
	s_and_saveexec_b64 s[0:1], vcc
	s_cbranch_execz .LBB9_4
; %bb.3:
	ds_read_b32 v7, v5
	v_and_b32_e32 v8, 3, v3
	v_cmp_ne_u32_e32 vcc, 0, v8
	s_waitcnt lgkmcnt(0)
	v_mov_b32_dpp v9, v7 row_shr:1 row_mask:0xf bank_mask:0xf
	v_cndmask_b32_e32 v9, 0, v9, vcc
	v_add_u32_e32 v7, v9, v7
	v_cmp_lt_u32_e32 vcc, 1, v8
	s_nop 0
	v_mov_b32_dpp v9, v7 row_shr:2 row_mask:0xf bank_mask:0xf
	v_cndmask_b32_e32 v8, 0, v9, vcc
	v_add_u32_e32 v7, v7, v8
	ds_write_b32 v5, v7
.LBB9_4:
	s_or_b64 exec, exec, s[0:1]
	v_cmp_lt_u32_e32 vcc, 63, v0
	v_mov_b32_e32 v7, 0
	v_mov_b32_e32 v8, 0
	s_waitcnt lgkmcnt(0)
	s_barrier
	s_and_saveexec_b64 s[0:1], vcc
	s_cbranch_execz .LBB9_6
; %bb.5:
	v_lshl_add_u32 v4, v4, 2, -4
	ds_read_b32 v8, v4
.LBB9_6:
	s_or_b64 exec, exec, s[0:1]
	s_waitcnt lgkmcnt(0)
	v_add_u32_e32 v4, v8, v6
	v_add_u32_e32 v6, -1, v3
	v_and_b32_e32 v9, 64, v3
	v_cmp_lt_i32_e32 vcc, v6, v9
	v_cndmask_b32_e32 v6, v6, v3, vcc
	v_lshlrev_b32_e32 v6, 2, v6
	ds_bpermute_b32 v4, v6, v4
	ds_read_b32 v6, v7 offset:12
	v_cmp_eq_u32_e32 vcc, 0, v3
	s_mov_b32 s29, 0
	s_waitcnt lgkmcnt(0)
	v_cndmask_b32_e32 v3, v4, v8, vcc
	v_cmp_eq_u32_e32 vcc, 0, v6
	v_readfirstlane_b32 s30, v6
	s_and_b64 vcc, exec, vcc
	s_barrier
	s_waitcnt vmcnt(0)
	ds_write_b8 v0, v1
	ds_write_b32 v5, v3 offset:256
	s_waitcnt lgkmcnt(0)
	s_barrier
	s_cbranch_vccnz .LBB9_91
; %bb.7:
	v_mov_b32_e32 v1, 0
	ds_read_b32 v7, v1 offset:768
	v_mul_lo_u32 v2, v2, 14
	v_mul_u32_u24_e32 v6, 14, v0
	v_mov_b32_e32 v3, v1
	v_mov_b32_e32 v0, s13
	v_add_co_u32_e32 v8, vcc, s12, v2
	v_addc_co_u32_e32 v9, vcc, 0, v0, vcc
	v_lshlrev_b64 v[4:5], 3, v[2:3]
	v_mov_b32_e32 v0, s15
	v_add_co_u32_e32 v3, vcc, s14, v4
	v_or_b32_e32 v10, 1, v2
	v_add_u32_e32 v11, 2, v2
	v_add_u32_e32 v12, 3, v2
	;; [unrolled: 1-line block ×12, first 2 shown]
	v_addc_co_u32_e32 v23, vcc, v0, v5, vcc
	v_mov_b32_e32 v24, 0x81
	v_mov_b32_e32 v25, 0x100
	;; [unrolled: 1-line block ×4, first 2 shown]
	s_mov_b32 s31, s30
	s_mov_b32 s28, s29
	s_branch .LBB9_9
.LBB9_8:                                ;   in Loop: Header=BB9_9 Depth=1
	s_or_b64 exec, exec, s[0:1]
	s_addk_i32 s28, 0xe00
	s_addk_i32 s31, 0xf200
	s_cmp_lt_u32 s28, s30
	s_cbranch_scc0 .LBB9_91
.LBB9_9:                                ; =>This Inner Loop Header: Depth=1
	v_add_u32_e32 v32, s28, v6
	s_waitcnt lgkmcnt(0)
	v_cmp_gt_u32_e32 vcc, v7, v32
	v_cndmask_b32_e64 v4, v27, 64, vcc
	v_lshlrev_b32_e32 v5, 2, v4
	ds_read_b32 v5, v5 offset:256
	v_cndmask_b32_e64 v0, v24, 0, vcc
	v_cndmask_b32_e32 v28, v25, v26, vcc
	v_or_b32_e32 v29, 1, v4
	s_waitcnt lgkmcnt(0)
	v_cmp_gt_u32_e32 vcc, v5, v32
	v_cndmask_b32_e32 v0, v29, v0, vcc
	v_cndmask_b32_e32 v4, v28, v4, vcc
	v_sub_u32_e32 v5, v4, v0
	v_lshrrev_b16_e32 v28, 15, v5
	v_add_u16_e32 v5, v5, v28
	v_ashrrev_i16_e32 v5, 1, v5
	v_add_u32_sdwa v5, v0, sext(v5) dst_sel:DWORD dst_unused:UNUSED_PAD src0_sel:DWORD src1_sel:WORD_0
	v_min_i32_e32 v5, 0xff, v5
	v_lshlrev_b32_e32 v28, 2, v5
	ds_read_b32 v28, v28 offset:256
	v_add_u32_e32 v29, 1, v5
	s_waitcnt lgkmcnt(0)
	v_cmp_gt_u32_e32 vcc, v28, v32
	v_cndmask_b32_e32 v0, v29, v0, vcc
	v_cndmask_b32_e32 v4, v4, v5, vcc
	v_sub_u32_e32 v5, v4, v0
	v_lshrrev_b16_e32 v28, 15, v5
	v_add_u16_e32 v5, v5, v28
	v_ashrrev_i16_e32 v5, 1, v5
	v_add_u32_sdwa v5, v0, sext(v5) dst_sel:DWORD dst_unused:UNUSED_PAD src0_sel:DWORD src1_sel:WORD_0
	v_min_i32_e32 v5, 0xff, v5
	v_lshlrev_b32_e32 v28, 2, v5
	ds_read_b32 v28, v28 offset:256
	v_add_u32_e32 v29, 1, v5
	;; [unrolled: 13-line block ×7, first 2 shown]
	v_add_u32_e32 v28, 1, v32
	s_waitcnt lgkmcnt(0)
	v_cmp_gt_u32_e32 vcc, v5, v32
	v_cndmask_b32_e32 v46, v4, v0, vcc
	v_lshlrev_b32_e32 v29, 2, v46
	ds_read2_b32 v[4:5], v29 offset0:63 offset1:64
	v_add_u32_e32 v0, -1, v46
	ds_read_u8 v38, v0
	s_waitcnt lgkmcnt(1)
	v_sub_u32_e32 v0, v32, v4
	v_cmp_eq_u32_e32 vcc, v28, v5
	v_mov_b32_e32 v28, v0
	s_waitcnt lgkmcnt(0)
	v_mov_b32_e32 v39, v38
	s_and_saveexec_b64 s[0:1], vcc
	s_cbranch_execz .LBB9_11
; %bb.10:                               ;   in Loop: Header=BB9_9 Depth=1
	ds_read_b32 v4, v29 offset:260
	ds_read_u8 v39, v46
	v_add_u32_e32 v46, 1, v46
	v_sub_u32_e32 v28, v32, v5
	s_waitcnt lgkmcnt(1)
	v_mov_b32_e32 v5, v4
.LBB9_11:                               ;   in Loop: Header=BB9_9 Depth=1
	s_or_b64 exec, exec, s[0:1]
	v_add_u32_e32 v4, 2, v32
	v_cmp_eq_u32_e32 vcc, v4, v5
	v_mov_b32_e32 v29, v28
	s_waitcnt lgkmcnt(0)
	v_mov_b32_e32 v41, v39
	s_and_saveexec_b64 s[0:1], vcc
	s_cbranch_execz .LBB9_13
; %bb.12:                               ;   in Loop: Header=BB9_9 Depth=1
	v_add_u32_e32 v4, 1, v46
	v_lshlrev_b32_e32 v29, 2, v4
	ds_read_b32 v30, v29 offset:256
	ds_read_u8 v41, v46
	v_sub_u32_e32 v29, v32, v5
	v_mov_b32_e32 v46, v4
	s_waitcnt lgkmcnt(1)
	v_mov_b32_e32 v5, v30
.LBB9_13:                               ;   in Loop: Header=BB9_9 Depth=1
	s_or_b64 exec, exec, s[0:1]
	v_add_u32_e32 v4, 3, v32
	v_cmp_eq_u32_e32 vcc, v4, v5
	v_mov_b32_e32 v30, v29
	s_waitcnt lgkmcnt(0)
	v_mov_b32_e32 v43, v41
	s_and_saveexec_b64 s[0:1], vcc
	s_cbranch_execz .LBB9_15
; %bb.14:                               ;   in Loop: Header=BB9_9 Depth=1
	v_lshlrev_b32_e32 v4, 2, v46
	ds_read2_b32 v[4:5], v4 offset0:64 offset1:65
	ds_read_u8 v43, v46
	v_add_u32_e32 v46, 1, v46
	s_waitcnt lgkmcnt(1)
	v_sub_u32_e32 v30, v32, v4
.LBB9_15:                               ;   in Loop: Header=BB9_9 Depth=1
	s_or_b64 exec, exec, s[0:1]
	v_add_u32_e32 v4, 4, v32
	v_cmp_eq_u32_e32 vcc, v4, v5
	v_mov_b32_e32 v31, v30
	s_waitcnt lgkmcnt(0)
	v_mov_b32_e32 v45, v43
	s_and_saveexec_b64 s[0:1], vcc
	s_cbranch_execz .LBB9_17
; %bb.16:                               ;   in Loop: Header=BB9_9 Depth=1
	v_lshlrev_b32_e32 v4, 2, v46
	ds_read2_b32 v[4:5], v4 offset0:64 offset1:65
	ds_read_u8 v45, v46
	v_add_u32_e32 v46, 1, v46
	s_waitcnt lgkmcnt(1)
	v_sub_u32_e32 v31, v32, v4
.LBB9_17:                               ;   in Loop: Header=BB9_9 Depth=1
	;; [unrolled: 16-line block ×10, first 2 shown]
	s_or_b64 exec, exec, s[0:1]
	v_add_u32_e32 v4, 13, v32
	v_cmp_eq_u32_e32 vcc, v4, v5
	v_mov_b32_e32 v47, v44
	s_waitcnt lgkmcnt(0)
	v_mov_b32_e32 v56, v55
	s_and_saveexec_b64 s[0:1], vcc
	s_cbranch_execz .LBB9_35
; %bb.34:                               ;   in Loop: Header=BB9_9 Depth=1
	v_lshlrev_b32_e32 v4, 2, v46
	ds_read_b32 v4, v4 offset:256
	ds_read_u8 v56, v46
	s_waitcnt lgkmcnt(1)
	v_sub_u32_e32 v47, v32, v4
.LBB9_35:                               ;   in Loop: Header=BB9_9 Depth=1
	s_or_b64 exec, exec, s[0:1]
	s_min_u32 s33, s31, 0xe00
	v_add_co_u32_e32 v4, vcc, s28, v8
	v_addc_co_u32_e32 v5, vcc, 0, v9, vcc
	v_cmp_gt_u32_e64 s[24:25], s33, v2
	s_and_saveexec_b64 s[0:1], s[24:25]
	s_cbranch_execnz .LBB9_64
; %bb.36:                               ;   in Loop: Header=BB9_9 Depth=1
	s_or_b64 exec, exec, s[0:1]
	v_cmp_gt_u32_e64 s[22:23], s33, v10
	s_and_saveexec_b64 s[0:1], s[22:23]
	s_cbranch_execnz .LBB9_65
.LBB9_37:                               ;   in Loop: Header=BB9_9 Depth=1
	s_or_b64 exec, exec, s[0:1]
	v_cmp_gt_u32_e64 s[20:21], s33, v11
	s_and_saveexec_b64 s[0:1], s[20:21]
	s_cbranch_execnz .LBB9_66
.LBB9_38:                               ;   in Loop: Header=BB9_9 Depth=1
	s_or_b64 exec, exec, s[0:1]
	v_cmp_gt_u32_e64 s[18:19], s33, v12
	s_and_saveexec_b64 s[0:1], s[18:19]
	s_cbranch_execnz .LBB9_67
.LBB9_39:                               ;   in Loop: Header=BB9_9 Depth=1
	s_or_b64 exec, exec, s[0:1]
	v_cmp_gt_u32_e64 s[16:17], s33, v13
	s_and_saveexec_b64 s[0:1], s[16:17]
	s_cbranch_execnz .LBB9_68
.LBB9_40:                               ;   in Loop: Header=BB9_9 Depth=1
	s_or_b64 exec, exec, s[0:1]
	v_cmp_gt_u32_e64 s[14:15], s33, v14
	s_and_saveexec_b64 s[0:1], s[14:15]
	s_cbranch_execnz .LBB9_69
.LBB9_41:                               ;   in Loop: Header=BB9_9 Depth=1
	s_or_b64 exec, exec, s[0:1]
	v_cmp_gt_u32_e64 s[12:13], s33, v15
	s_and_saveexec_b64 s[0:1], s[12:13]
	s_cbranch_execnz .LBB9_70
.LBB9_42:                               ;   in Loop: Header=BB9_9 Depth=1
	s_or_b64 exec, exec, s[0:1]
	v_cmp_gt_u32_e64 s[10:11], s33, v16
	s_and_saveexec_b64 s[0:1], s[10:11]
	s_cbranch_execnz .LBB9_71
.LBB9_43:                               ;   in Loop: Header=BB9_9 Depth=1
	s_or_b64 exec, exec, s[0:1]
	v_cmp_gt_u32_e64 s[8:9], s33, v17
	s_and_saveexec_b64 s[0:1], s[8:9]
	s_cbranch_execnz .LBB9_72
.LBB9_44:                               ;   in Loop: Header=BB9_9 Depth=1
	s_or_b64 exec, exec, s[0:1]
	v_cmp_gt_u32_e64 s[6:7], s33, v18
	s_and_saveexec_b64 s[0:1], s[6:7]
	s_cbranch_execnz .LBB9_73
.LBB9_45:                               ;   in Loop: Header=BB9_9 Depth=1
	s_or_b64 exec, exec, s[0:1]
	v_cmp_gt_u32_e64 s[4:5], s33, v19
	s_and_saveexec_b64 s[0:1], s[4:5]
	s_cbranch_execnz .LBB9_74
.LBB9_46:                               ;   in Loop: Header=BB9_9 Depth=1
	s_or_b64 exec, exec, s[0:1]
	v_cmp_gt_u32_e64 s[2:3], s33, v20
	s_and_saveexec_b64 s[0:1], s[2:3]
	s_cbranch_execnz .LBB9_75
.LBB9_47:                               ;   in Loop: Header=BB9_9 Depth=1
	s_or_b64 exec, exec, s[0:1]
	v_cmp_gt_u32_e64 s[0:1], s33, v21
	s_and_saveexec_b64 s[26:27], s[0:1]
	s_cbranch_execnz .LBB9_76
.LBB9_48:                               ;   in Loop: Header=BB9_9 Depth=1
	s_or_b64 exec, exec, s[26:27]
	v_cmp_gt_u32_e32 vcc, s33, v22
	s_and_saveexec_b64 s[26:27], vcc
	s_cbranch_execz .LBB9_50
.LBB9_49:                               ;   in Loop: Header=BB9_9 Depth=1
	s_waitcnt lgkmcnt(0)
	global_store_byte v[4:5], v56, off offset:13
.LBB9_50:                               ;   in Loop: Header=BB9_9 Depth=1
	s_or_b64 exec, exec, s[26:27]
	s_lshl_b64 s[26:27], s[28:29], 3
	v_mov_b32_e32 v5, s27
	v_add_co_u32_e64 v4, s[26:27], s26, v3
	v_addc_co_u32_e64 v5, s[26:27], v23, v5, s[26:27]
	s_and_saveexec_b64 s[26:27], s[24:25]
	s_cbranch_execnz .LBB9_77
; %bb.51:                               ;   in Loop: Header=BB9_9 Depth=1
	s_or_b64 exec, exec, s[26:27]
	s_and_saveexec_b64 s[24:25], s[22:23]
	s_cbranch_execnz .LBB9_78
.LBB9_52:                               ;   in Loop: Header=BB9_9 Depth=1
	s_or_b64 exec, exec, s[24:25]
	s_and_saveexec_b64 s[22:23], s[20:21]
	s_cbranch_execnz .LBB9_79
.LBB9_53:                               ;   in Loop: Header=BB9_9 Depth=1
	s_or_b64 exec, exec, s[22:23]
	s_and_saveexec_b64 s[20:21], s[18:19]
	s_cbranch_execnz .LBB9_80
.LBB9_54:                               ;   in Loop: Header=BB9_9 Depth=1
	s_or_b64 exec, exec, s[20:21]
	s_and_saveexec_b64 s[18:19], s[16:17]
	s_cbranch_execnz .LBB9_81
.LBB9_55:                               ;   in Loop: Header=BB9_9 Depth=1
	s_or_b64 exec, exec, s[18:19]
	s_and_saveexec_b64 s[16:17], s[14:15]
	s_cbranch_execnz .LBB9_82
.LBB9_56:                               ;   in Loop: Header=BB9_9 Depth=1
	s_or_b64 exec, exec, s[16:17]
	s_and_saveexec_b64 s[14:15], s[12:13]
	s_cbranch_execnz .LBB9_83
.LBB9_57:                               ;   in Loop: Header=BB9_9 Depth=1
	s_or_b64 exec, exec, s[14:15]
	s_and_saveexec_b64 s[12:13], s[10:11]
	s_cbranch_execnz .LBB9_84
.LBB9_58:                               ;   in Loop: Header=BB9_9 Depth=1
	s_or_b64 exec, exec, s[12:13]
	s_and_saveexec_b64 s[10:11], s[8:9]
	s_cbranch_execnz .LBB9_85
.LBB9_59:                               ;   in Loop: Header=BB9_9 Depth=1
	s_or_b64 exec, exec, s[10:11]
	s_and_saveexec_b64 s[8:9], s[6:7]
	s_cbranch_execnz .LBB9_86
.LBB9_60:                               ;   in Loop: Header=BB9_9 Depth=1
	s_or_b64 exec, exec, s[8:9]
	s_and_saveexec_b64 s[6:7], s[4:5]
	s_cbranch_execnz .LBB9_87
.LBB9_61:                               ;   in Loop: Header=BB9_9 Depth=1
	s_or_b64 exec, exec, s[6:7]
	s_and_saveexec_b64 s[4:5], s[2:3]
	s_cbranch_execnz .LBB9_88
.LBB9_62:                               ;   in Loop: Header=BB9_9 Depth=1
	s_or_b64 exec, exec, s[4:5]
	s_and_saveexec_b64 s[2:3], s[0:1]
	s_cbranch_execnz .LBB9_89
.LBB9_63:                               ;   in Loop: Header=BB9_9 Depth=1
	s_or_b64 exec, exec, s[2:3]
	s_and_saveexec_b64 s[0:1], vcc
	s_cbranch_execz .LBB9_8
	s_branch .LBB9_90
.LBB9_64:                               ;   in Loop: Header=BB9_9 Depth=1
	global_store_byte v[4:5], v38, off
	s_or_b64 exec, exec, s[0:1]
	v_cmp_gt_u32_e64 s[22:23], s33, v10
	s_and_saveexec_b64 s[0:1], s[22:23]
	s_cbranch_execz .LBB9_37
.LBB9_65:                               ;   in Loop: Header=BB9_9 Depth=1
	global_store_byte v[4:5], v39, off offset:1
	s_or_b64 exec, exec, s[0:1]
	v_cmp_gt_u32_e64 s[20:21], s33, v11
	s_and_saveexec_b64 s[0:1], s[20:21]
	s_cbranch_execz .LBB9_38
.LBB9_66:                               ;   in Loop: Header=BB9_9 Depth=1
	global_store_byte v[4:5], v41, off offset:2
	s_or_b64 exec, exec, s[0:1]
	v_cmp_gt_u32_e64 s[18:19], s33, v12
	s_and_saveexec_b64 s[0:1], s[18:19]
	s_cbranch_execz .LBB9_39
.LBB9_67:                               ;   in Loop: Header=BB9_9 Depth=1
	global_store_byte v[4:5], v43, off offset:3
	s_or_b64 exec, exec, s[0:1]
	v_cmp_gt_u32_e64 s[16:17], s33, v13
	s_and_saveexec_b64 s[0:1], s[16:17]
	s_cbranch_execz .LBB9_40
.LBB9_68:                               ;   in Loop: Header=BB9_9 Depth=1
	global_store_byte v[4:5], v45, off offset:4
	s_or_b64 exec, exec, s[0:1]
	v_cmp_gt_u32_e64 s[14:15], s33, v14
	s_and_saveexec_b64 s[0:1], s[14:15]
	s_cbranch_execz .LBB9_41
.LBB9_69:                               ;   in Loop: Header=BB9_9 Depth=1
	global_store_byte v[4:5], v48, off offset:5
	s_or_b64 exec, exec, s[0:1]
	v_cmp_gt_u32_e64 s[12:13], s33, v15
	s_and_saveexec_b64 s[0:1], s[12:13]
	s_cbranch_execz .LBB9_42
.LBB9_70:                               ;   in Loop: Header=BB9_9 Depth=1
	global_store_byte v[4:5], v49, off offset:6
	s_or_b64 exec, exec, s[0:1]
	v_cmp_gt_u32_e64 s[10:11], s33, v16
	s_and_saveexec_b64 s[0:1], s[10:11]
	s_cbranch_execz .LBB9_43
.LBB9_71:                               ;   in Loop: Header=BB9_9 Depth=1
	global_store_byte v[4:5], v50, off offset:7
	s_or_b64 exec, exec, s[0:1]
	v_cmp_gt_u32_e64 s[8:9], s33, v17
	s_and_saveexec_b64 s[0:1], s[8:9]
	s_cbranch_execz .LBB9_44
.LBB9_72:                               ;   in Loop: Header=BB9_9 Depth=1
	global_store_byte v[4:5], v51, off offset:8
	s_or_b64 exec, exec, s[0:1]
	v_cmp_gt_u32_e64 s[6:7], s33, v18
	s_and_saveexec_b64 s[0:1], s[6:7]
	s_cbranch_execz .LBB9_45
.LBB9_73:                               ;   in Loop: Header=BB9_9 Depth=1
	global_store_byte v[4:5], v52, off offset:9
	s_or_b64 exec, exec, s[0:1]
	v_cmp_gt_u32_e64 s[4:5], s33, v19
	s_and_saveexec_b64 s[0:1], s[4:5]
	s_cbranch_execz .LBB9_46
.LBB9_74:                               ;   in Loop: Header=BB9_9 Depth=1
	global_store_byte v[4:5], v53, off offset:10
	s_or_b64 exec, exec, s[0:1]
	v_cmp_gt_u32_e64 s[2:3], s33, v20
	s_and_saveexec_b64 s[0:1], s[2:3]
	s_cbranch_execz .LBB9_47
.LBB9_75:                               ;   in Loop: Header=BB9_9 Depth=1
	global_store_byte v[4:5], v54, off offset:11
	s_or_b64 exec, exec, s[0:1]
	v_cmp_gt_u32_e64 s[0:1], s33, v21
	s_and_saveexec_b64 s[26:27], s[0:1]
	s_cbranch_execz .LBB9_48
.LBB9_76:                               ;   in Loop: Header=BB9_9 Depth=1
	global_store_byte v[4:5], v55, off offset:12
	s_or_b64 exec, exec, s[26:27]
	v_cmp_gt_u32_e32 vcc, s33, v22
	s_and_saveexec_b64 s[26:27], vcc
	s_cbranch_execnz .LBB9_49
	s_branch .LBB9_50
.LBB9_77:                               ;   in Loop: Header=BB9_9 Depth=1
	global_store_dwordx2 v[4:5], v[0:1], off
	s_or_b64 exec, exec, s[26:27]
	s_and_saveexec_b64 s[24:25], s[22:23]
	s_cbranch_execz .LBB9_52
.LBB9_78:                               ;   in Loop: Header=BB9_9 Depth=1
	v_add_u32_e32 v0, 1, v28
	global_store_dwordx2 v[4:5], v[0:1], off offset:8
	s_or_b64 exec, exec, s[24:25]
	s_and_saveexec_b64 s[22:23], s[20:21]
	s_cbranch_execz .LBB9_53
.LBB9_79:                               ;   in Loop: Header=BB9_9 Depth=1
	v_add_u32_e32 v0, 2, v29
	global_store_dwordx2 v[4:5], v[0:1], off offset:16
	s_or_b64 exec, exec, s[22:23]
	s_and_saveexec_b64 s[20:21], s[18:19]
	s_cbranch_execz .LBB9_54
.LBB9_80:                               ;   in Loop: Header=BB9_9 Depth=1
	v_add_u32_e32 v0, 3, v30
	global_store_dwordx2 v[4:5], v[0:1], off offset:24
	s_or_b64 exec, exec, s[20:21]
	s_and_saveexec_b64 s[18:19], s[16:17]
	s_cbranch_execz .LBB9_55
.LBB9_81:                               ;   in Loop: Header=BB9_9 Depth=1
	v_add_u32_e32 v0, 4, v31
	global_store_dwordx2 v[4:5], v[0:1], off offset:32
	s_or_b64 exec, exec, s[18:19]
	s_and_saveexec_b64 s[16:17], s[14:15]
	s_cbranch_execz .LBB9_56
.LBB9_82:                               ;   in Loop: Header=BB9_9 Depth=1
	v_add_u32_e32 v0, 5, v33
	global_store_dwordx2 v[4:5], v[0:1], off offset:40
	s_or_b64 exec, exec, s[16:17]
	s_and_saveexec_b64 s[14:15], s[12:13]
	s_cbranch_execz .LBB9_57
.LBB9_83:                               ;   in Loop: Header=BB9_9 Depth=1
	v_add_u32_e32 v0, 6, v34
	global_store_dwordx2 v[4:5], v[0:1], off offset:48
	s_or_b64 exec, exec, s[14:15]
	s_and_saveexec_b64 s[12:13], s[10:11]
	s_cbranch_execz .LBB9_58
.LBB9_84:                               ;   in Loop: Header=BB9_9 Depth=1
	v_add_u32_e32 v0, 7, v35
	global_store_dwordx2 v[4:5], v[0:1], off offset:56
	s_or_b64 exec, exec, s[12:13]
	s_and_saveexec_b64 s[10:11], s[8:9]
	s_cbranch_execz .LBB9_59
.LBB9_85:                               ;   in Loop: Header=BB9_9 Depth=1
	v_add_u32_e32 v0, 8, v36
	global_store_dwordx2 v[4:5], v[0:1], off offset:64
	s_or_b64 exec, exec, s[10:11]
	s_and_saveexec_b64 s[8:9], s[6:7]
	s_cbranch_execz .LBB9_60
.LBB9_86:                               ;   in Loop: Header=BB9_9 Depth=1
	v_add_u32_e32 v0, 9, v37
	global_store_dwordx2 v[4:5], v[0:1], off offset:72
	s_or_b64 exec, exec, s[8:9]
	s_and_saveexec_b64 s[6:7], s[4:5]
	s_cbranch_execz .LBB9_61
.LBB9_87:                               ;   in Loop: Header=BB9_9 Depth=1
	v_add_u32_e32 v0, 10, v40
	global_store_dwordx2 v[4:5], v[0:1], off offset:80
	s_or_b64 exec, exec, s[6:7]
	s_and_saveexec_b64 s[4:5], s[2:3]
	s_cbranch_execz .LBB9_62
.LBB9_88:                               ;   in Loop: Header=BB9_9 Depth=1
	v_add_u32_e32 v0, 11, v42
	global_store_dwordx2 v[4:5], v[0:1], off offset:88
	s_or_b64 exec, exec, s[4:5]
	s_and_saveexec_b64 s[2:3], s[0:1]
	s_cbranch_execz .LBB9_63
.LBB9_89:                               ;   in Loop: Header=BB9_9 Depth=1
	v_add_u32_e32 v0, 12, v44
	global_store_dwordx2 v[4:5], v[0:1], off offset:96
	s_or_b64 exec, exec, s[2:3]
	s_and_saveexec_b64 s[0:1], vcc
	s_cbranch_execz .LBB9_8
.LBB9_90:                               ;   in Loop: Header=BB9_9 Depth=1
	v_add_u32_e32 v0, 13, v47
	global_store_dwordx2 v[4:5], v[0:1], off offset:104
	s_branch .LBB9_8
.LBB9_91:
	s_endpgm
	.section	.rodata,"a",@progbits
	.p2align	6, 0x0
	.amdhsa_kernel _Z30block_run_length_decode_kernelIcxLj256ELj1ELj14EEvPKT_PKT0_PS0_PS3_
		.amdhsa_group_segment_fixed_size 1280
		.amdhsa_private_segment_fixed_size 0
		.amdhsa_kernarg_size 32
		.amdhsa_user_sgpr_count 6
		.amdhsa_user_sgpr_private_segment_buffer 1
		.amdhsa_user_sgpr_dispatch_ptr 0
		.amdhsa_user_sgpr_queue_ptr 0
		.amdhsa_user_sgpr_kernarg_segment_ptr 1
		.amdhsa_user_sgpr_dispatch_id 0
		.amdhsa_user_sgpr_flat_scratch_init 0
		.amdhsa_user_sgpr_kernarg_preload_length 0
		.amdhsa_user_sgpr_kernarg_preload_offset 0
		.amdhsa_user_sgpr_private_segment_size 0
		.amdhsa_uses_dynamic_stack 0
		.amdhsa_system_sgpr_private_segment_wavefront_offset 0
		.amdhsa_system_sgpr_workgroup_id_x 1
		.amdhsa_system_sgpr_workgroup_id_y 0
		.amdhsa_system_sgpr_workgroup_id_z 0
		.amdhsa_system_sgpr_workgroup_info 0
		.amdhsa_system_vgpr_workitem_id 0
		.amdhsa_next_free_vgpr 57
		.amdhsa_next_free_sgpr 34
		.amdhsa_accum_offset 60
		.amdhsa_reserve_vcc 1
		.amdhsa_reserve_flat_scratch 0
		.amdhsa_float_round_mode_32 0
		.amdhsa_float_round_mode_16_64 0
		.amdhsa_float_denorm_mode_32 3
		.amdhsa_float_denorm_mode_16_64 3
		.amdhsa_dx10_clamp 1
		.amdhsa_ieee_mode 1
		.amdhsa_fp16_overflow 0
		.amdhsa_tg_split 0
		.amdhsa_exception_fp_ieee_invalid_op 0
		.amdhsa_exception_fp_denorm_src 0
		.amdhsa_exception_fp_ieee_div_zero 0
		.amdhsa_exception_fp_ieee_overflow 0
		.amdhsa_exception_fp_ieee_underflow 0
		.amdhsa_exception_fp_ieee_inexact 0
		.amdhsa_exception_int_div_zero 0
	.end_amdhsa_kernel
	.section	.text._Z30block_run_length_decode_kernelIcxLj256ELj1ELj14EEvPKT_PKT0_PS0_PS3_,"axG",@progbits,_Z30block_run_length_decode_kernelIcxLj256ELj1ELj14EEvPKT_PKT0_PS0_PS3_,comdat
.Lfunc_end9:
	.size	_Z30block_run_length_decode_kernelIcxLj256ELj1ELj14EEvPKT_PKT0_PS0_PS3_, .Lfunc_end9-_Z30block_run_length_decode_kernelIcxLj256ELj1ELj14EEvPKT_PKT0_PS0_PS3_
                                        ; -- End function
	.section	.AMDGPU.csdata,"",@progbits
; Kernel info:
; codeLenInByte = 3256
; NumSgprs: 38
; NumVgprs: 57
; NumAgprs: 0
; TotalNumVgprs: 57
; ScratchSize: 0
; MemoryBound: 0
; FloatMode: 240
; IeeeMode: 1
; LDSByteSize: 1280 bytes/workgroup (compile time only)
; SGPRBlocks: 4
; VGPRBlocks: 7
; NumSGPRsForWavesPerEU: 38
; NumVGPRsForWavesPerEU: 57
; AccumOffset: 60
; Occupancy: 8
; WaveLimiterHint : 0
; COMPUTE_PGM_RSRC2:SCRATCH_EN: 0
; COMPUTE_PGM_RSRC2:USER_SGPR: 6
; COMPUTE_PGM_RSRC2:TRAP_HANDLER: 0
; COMPUTE_PGM_RSRC2:TGID_X_EN: 1
; COMPUTE_PGM_RSRC2:TGID_Y_EN: 0
; COMPUTE_PGM_RSRC2:TGID_Z_EN: 0
; COMPUTE_PGM_RSRC2:TIDIG_COMP_CNT: 0
; COMPUTE_PGM_RSRC3_GFX90A:ACCUM_OFFSET: 14
; COMPUTE_PGM_RSRC3_GFX90A:TG_SPLIT: 0
	.section	.text._Z30block_run_length_decode_kernelIdcLj256ELj1ELj14EEvPKT_PKT0_PS0_PS3_,"axG",@progbits,_Z30block_run_length_decode_kernelIdcLj256ELj1ELj14EEvPKT_PKT0_PS0_PS3_,comdat
	.protected	_Z30block_run_length_decode_kernelIdcLj256ELj1ELj14EEvPKT_PKT0_PS0_PS3_ ; -- Begin function _Z30block_run_length_decode_kernelIdcLj256ELj1ELj14EEvPKT_PKT0_PS0_PS3_
	.globl	_Z30block_run_length_decode_kernelIdcLj256ELj1ELj14EEvPKT_PKT0_PS0_PS3_
	.p2align	8
	.type	_Z30block_run_length_decode_kernelIdcLj256ELj1ELj14EEvPKT_PKT0_PS0_PS3_,@function
_Z30block_run_length_decode_kernelIdcLj256ELj1ELj14EEvPKT_PKT0_PS0_PS3_: ; @_Z30block_run_length_decode_kernelIdcLj256ELj1ELj14EEvPKT_PKT0_PS0_PS3_
; %bb.0:
	s_load_dwordx8 s[8:15], s[4:5], 0x0
	v_lshl_or_b32 v2, s6, 8, v0
	v_mov_b32_e32 v3, 0
	v_lshlrev_b64 v[4:5], 3, v[2:3]
	v_or_b32_e32 v8, 63, v0
	s_waitcnt lgkmcnt(0)
	global_load_sbyte v6, v2, s[10:11]
	v_mov_b32_e32 v1, s9
	v_add_co_u32_e32 v4, vcc, s8, v4
	v_addc_co_u32_e32 v5, vcc, v1, v5, vcc
	global_load_dwordx2 v[4:5], v[4:5], off
	v_mbcnt_lo_u32_b32 v1, -1, 0
	v_mbcnt_hi_u32_b32 v1, -1, v1
	v_and_b32_e32 v7, 15, v1
	v_cmp_ne_u32_e32 vcc, 0, v7
	v_bfe_i32 v9, v1, 4, 1
	v_lshrrev_b32_e32 v3, 6, v0
	s_waitcnt vmcnt(1)
	v_mov_b32_dpp v10, v6 row_shr:1 row_mask:0xf bank_mask:0xf
	v_cndmask_b32_e32 v10, 0, v10, vcc
	v_add_u32_e32 v6, v10, v6
	v_cmp_lt_u32_e32 vcc, 1, v7
	s_nop 0
	v_mov_b32_dpp v10, v6 row_shr:2 row_mask:0xf bank_mask:0xf
	v_cndmask_b32_e32 v10, 0, v10, vcc
	v_add_u32_e32 v6, v6, v10
	v_cmp_lt_u32_e32 vcc, 3, v7
	s_nop 0
	;; [unrolled: 5-line block ×4, first 2 shown]
	v_mov_b32_dpp v7, v6 row_bcast:15 row_mask:0xf bank_mask:0xf
	v_and_b32_e32 v7, v9, v7
	v_add_u32_e32 v6, v6, v7
	s_nop 1
	v_mov_b32_dpp v7, v6 row_bcast:31 row_mask:0xf bank_mask:0xf
	v_cndmask_b32_e32 v7, 0, v7, vcc
	v_add_u32_e32 v7, v6, v7
	v_cmp_eq_u32_e32 vcc, v8, v0
	s_and_saveexec_b64 s[0:1], vcc
	s_cbranch_execz .LBB10_2
; %bb.1:
	v_lshlrev_b32_e32 v6, 2, v3
	ds_write_b32 v6, v7
.LBB10_2:
	s_or_b64 exec, exec, s[0:1]
	v_cmp_gt_u32_e32 vcc, 4, v0
	v_lshlrev_b32_e32 v6, 2, v0
	s_waitcnt lgkmcnt(0)
	s_barrier
	s_and_saveexec_b64 s[0:1], vcc
	s_cbranch_execz .LBB10_4
; %bb.3:
	ds_read_b32 v8, v6
	v_and_b32_e32 v9, 3, v1
	v_cmp_ne_u32_e32 vcc, 0, v9
	s_waitcnt lgkmcnt(0)
	v_mov_b32_dpp v10, v8 row_shr:1 row_mask:0xf bank_mask:0xf
	v_cndmask_b32_e32 v10, 0, v10, vcc
	v_add_u32_e32 v8, v10, v8
	v_cmp_lt_u32_e32 vcc, 1, v9
	s_nop 0
	v_mov_b32_dpp v10, v8 row_shr:2 row_mask:0xf bank_mask:0xf
	v_cndmask_b32_e32 v9, 0, v10, vcc
	v_add_u32_e32 v8, v8, v9
	ds_write_b32 v6, v8
.LBB10_4:
	s_or_b64 exec, exec, s[0:1]
	v_cmp_lt_u32_e32 vcc, 63, v0
	v_mov_b32_e32 v8, 0
	v_mov_b32_e32 v9, 0
	s_waitcnt lgkmcnt(0)
	s_barrier
	s_and_saveexec_b64 s[0:1], vcc
	s_cbranch_execz .LBB10_6
; %bb.5:
	v_lshl_add_u32 v3, v3, 2, -4
	ds_read_b32 v9, v3
.LBB10_6:
	s_or_b64 exec, exec, s[0:1]
	s_waitcnt lgkmcnt(0)
	v_add_u32_e32 v3, v9, v7
	v_add_u32_e32 v7, -1, v1
	v_and_b32_e32 v10, 64, v1
	v_cmp_lt_i32_e32 vcc, v7, v10
	v_cndmask_b32_e32 v7, v7, v1, vcc
	v_lshlrev_b32_e32 v7, 2, v7
	ds_bpermute_b32 v3, v7, v3
	ds_read_b32 v7, v8 offset:12
	v_cmp_eq_u32_e32 vcc, 0, v1
	s_mov_b32 s29, 0
	s_waitcnt lgkmcnt(0)
	v_cndmask_b32_e32 v1, v3, v9, vcc
	v_cmp_eq_u32_e32 vcc, 0, v7
	v_readfirstlane_b32 s30, v7
	v_lshlrev_b32_e32 v3, 3, v0
	s_and_b64 vcc, exec, vcc
	s_barrier
	s_waitcnt vmcnt(0)
	ds_write_b64 v3, v[4:5]
	ds_write_b32 v6, v1 offset:2048
	s_waitcnt lgkmcnt(0)
	s_barrier
	s_cbranch_vccnz .LBB10_91
; %bb.7:
	v_mul_u32_u24_e32 v34, 14, v0
	v_mov_b32_e32 v1, 0
	v_mul_lo_u32 v0, v2, 14
	ds_read_b32 v35, v1 offset:2560
	v_lshlrev_b64 v[2:3], 3, v[0:1]
	v_mov_b32_e32 v4, s13
	v_add_co_u32_e32 v1, vcc, s12, v2
	v_addc_co_u32_e32 v36, vcc, v4, v3, vcc
	v_mov_b32_e32 v2, s15
	v_add_co_u32_e32 v50, vcc, s14, v0
	v_or_b32_e32 v37, 1, v0
	v_add_u32_e32 v38, 2, v0
	v_add_u32_e32 v39, 3, v0
	;; [unrolled: 1-line block ×12, first 2 shown]
	v_addc_co_u32_e32 v51, vcc, 0, v2, vcc
	v_mov_b32_e32 v52, 0x81
	v_mov_b32_e32 v53, 0x100
	;; [unrolled: 1-line block ×5, first 2 shown]
	s_mov_b32 s31, s30
	s_mov_b32 s28, s29
	s_branch .LBB10_9
.LBB10_8:                               ;   in Loop: Header=BB10_9 Depth=1
	s_or_b64 exec, exec, s[0:1]
	s_addk_i32 s28, 0xe00
	s_addk_i32 s31, 0xf200
	s_cmp_lt_u32 s28, s30
	s_cbranch_scc0 .LBB10_91
.LBB10_9:                               ; =>This Inner Loop Header: Depth=1
	v_add_u32_e32 v32, s28, v34
	s_waitcnt lgkmcnt(0)
	v_cmp_gt_u32_e32 vcc, v35, v32
	v_cndmask_b32_e64 v3, v55, 64, vcc
	v_lshlrev_b32_e32 v4, 2, v3
	ds_read_b32 v4, v4 offset:2048
	v_cndmask_b32_e64 v2, v52, 0, vcc
	v_cndmask_b32_e32 v5, v53, v54, vcc
	v_or_b32_e32 v6, 1, v3
	s_waitcnt lgkmcnt(0)
	v_cmp_gt_u32_e32 vcc, v4, v32
	v_cndmask_b32_e32 v2, v6, v2, vcc
	v_cndmask_b32_e32 v3, v5, v3, vcc
	v_sub_u32_e32 v4, v3, v2
	v_lshrrev_b16_e32 v5, 15, v4
	v_add_u16_e32 v4, v4, v5
	v_ashrrev_i16_e32 v4, 1, v4
	v_add_u32_sdwa v4, v2, sext(v4) dst_sel:DWORD dst_unused:UNUSED_PAD src0_sel:DWORD src1_sel:WORD_0
	v_min_i32_e32 v4, 0xff, v4
	v_lshlrev_b32_e32 v5, 2, v4
	ds_read_b32 v5, v5 offset:2048
	v_add_u32_e32 v6, 1, v4
	s_waitcnt lgkmcnt(0)
	v_cmp_gt_u32_e32 vcc, v5, v32
	v_cndmask_b32_e32 v2, v6, v2, vcc
	v_cndmask_b32_e32 v3, v3, v4, vcc
	v_sub_u32_e32 v4, v3, v2
	v_lshrrev_b16_e32 v5, 15, v4
	v_add_u16_e32 v4, v4, v5
	v_ashrrev_i16_e32 v4, 1, v4
	v_add_u32_sdwa v4, v2, sext(v4) dst_sel:DWORD dst_unused:UNUSED_PAD src0_sel:DWORD src1_sel:WORD_0
	v_min_i32_e32 v4, 0xff, v4
	v_lshlrev_b32_e32 v5, 2, v4
	ds_read_b32 v5, v5 offset:2048
	v_add_u32_e32 v6, 1, v4
	;; [unrolled: 13-line block ×7, first 2 shown]
	v_add_u32_e32 v6, 1, v32
	s_waitcnt lgkmcnt(0)
	v_cmp_gt_u32_e32 vcc, v4, v32
	v_cndmask_b32_e32 v33, v3, v2, vcc
	v_lshlrev_b32_e32 v8, 2, v33
	v_add_u32_e32 v2, 0x7fc, v8
	v_lshl_add_u32 v4, v33, 3, -8
	ds_read2_b32 v[2:3], v2 offset1:1
	ds_read_b64 v[4:5], v4
	s_waitcnt lgkmcnt(1)
	v_cmp_eq_u32_e32 vcc, v6, v3
	v_mov_b32_e32 v9, v2
	s_waitcnt lgkmcnt(0)
	v_pk_mov_b32 v[6:7], v[4:5], v[4:5] op_sel:[0,1]
	s_and_saveexec_b64 s[0:1], vcc
	s_cbranch_execz .LBB10_11
; %bb.10:                               ;   in Loop: Header=BB10_9 Depth=1
	v_lshlrev_b32_e32 v6, 3, v33
	ds_read_b32 v8, v8 offset:2052
	ds_read_b64 v[6:7], v6
	v_add_u32_e32 v33, 1, v33
	v_mov_b32_e32 v9, v3
	s_waitcnt lgkmcnt(1)
	v_mov_b32_e32 v3, v8
.LBB10_11:                              ;   in Loop: Header=BB10_9 Depth=1
	s_or_b64 exec, exec, s[0:1]
	v_sub_u32_e32 v57, v32, v9
	v_add_u32_e32 v8, 2, v32
	v_cmp_eq_u32_e32 vcc, v8, v3
	v_mov_b32_e32 v58, v57
	s_waitcnt lgkmcnt(0)
	v_pk_mov_b32 v[8:9], v[6:7], v[6:7] op_sel:[0,1]
	s_and_saveexec_b64 s[0:1], vcc
	s_cbranch_execz .LBB10_13
; %bb.12:                               ;   in Loop: Header=BB10_9 Depth=1
	v_add_u32_e32 v10, 1, v33
	v_lshlrev_b32_e32 v8, 2, v10
	v_lshlrev_b32_e32 v9, 3, v33
	ds_read_b32 v11, v8 offset:2048
	ds_read_b64 v[8:9], v9
	v_sub_u32_e32 v58, v32, v3
	v_mov_b32_e32 v33, v10
	s_waitcnt lgkmcnt(1)
	v_mov_b32_e32 v3, v11
.LBB10_13:                              ;   in Loop: Header=BB10_9 Depth=1
	s_or_b64 exec, exec, s[0:1]
	v_add_u32_e32 v10, 3, v32
	v_cmp_eq_u32_e32 vcc, v10, v3
	v_mov_b32_e32 v59, v58
	s_waitcnt lgkmcnt(0)
	v_pk_mov_b32 v[10:11], v[8:9], v[8:9] op_sel:[0,1]
	s_and_saveexec_b64 s[0:1], vcc
	s_cbranch_execz .LBB10_15
; %bb.14:                               ;   in Loop: Header=BB10_9 Depth=1
	v_lshl_add_u32 v3, v33, 2, v56
	ds_read2_b32 v[12:13], v3 offset1:1
	v_lshlrev_b32_e32 v3, 3, v33
	ds_read_b64 v[10:11], v3
	v_add_u32_e32 v33, 1, v33
	s_waitcnt lgkmcnt(1)
	v_sub_u32_e32 v59, v32, v12
	v_mov_b32_e32 v3, v13
.LBB10_15:                              ;   in Loop: Header=BB10_9 Depth=1
	s_or_b64 exec, exec, s[0:1]
	v_add_u32_e32 v12, 4, v32
	v_cmp_eq_u32_e32 vcc, v12, v3
	v_mov_b32_e32 v60, v59
	s_waitcnt lgkmcnt(0)
	v_pk_mov_b32 v[12:13], v[10:11], v[10:11] op_sel:[0,1]
	s_and_saveexec_b64 s[0:1], vcc
	s_cbranch_execz .LBB10_17
; %bb.16:                               ;   in Loop: Header=BB10_9 Depth=1
	v_lshl_add_u32 v3, v33, 2, v56
	ds_read2_b32 v[14:15], v3 offset1:1
	v_lshlrev_b32_e32 v3, 3, v33
	ds_read_b64 v[12:13], v3
	v_add_u32_e32 v33, 1, v33
	s_waitcnt lgkmcnt(1)
	v_sub_u32_e32 v60, v32, v14
	v_mov_b32_e32 v3, v15
.LBB10_17:                              ;   in Loop: Header=BB10_9 Depth=1
	;; [unrolled: 18-line block ×10, first 2 shown]
	s_or_b64 exec, exec, s[0:1]
	v_add_u32_e32 v30, 13, v32
	v_cmp_eq_u32_e32 vcc, v30, v3
	v_mov_b32_e32 v3, v68
	s_waitcnt lgkmcnt(0)
	v_pk_mov_b32 v[30:31], v[28:29], v[28:29] op_sel:[0,1]
	s_and_saveexec_b64 s[0:1], vcc
	s_cbranch_execz .LBB10_35
; %bb.34:                               ;   in Loop: Header=BB10_9 Depth=1
	v_lshlrev_b32_e32 v3, 2, v33
	v_lshlrev_b32_e32 v30, 3, v33
	ds_read_b32 v3, v3 offset:2048
	ds_read_b64 v[30:31], v30
	s_waitcnt lgkmcnt(1)
	v_sub_u32_e32 v3, v32, v3
.LBB10_35:                              ;   in Loop: Header=BB10_9 Depth=1
	s_or_b64 exec, exec, s[0:1]
	s_lshl_b64 s[0:1], s[28:29], 3
	v_mov_b32_e32 v33, s1
	v_add_co_u32_e32 v32, vcc, s0, v1
	s_min_u32 s26, s31, 0xe00
	v_addc_co_u32_e32 v33, vcc, v36, v33, vcc
	v_cmp_gt_u32_e32 vcc, s26, v0
	s_and_saveexec_b64 s[0:1], vcc
	s_cbranch_execnz .LBB10_64
; %bb.36:                               ;   in Loop: Header=BB10_9 Depth=1
	s_or_b64 exec, exec, s[0:1]
	v_cmp_gt_u32_e64 s[0:1], s26, v37
	s_and_saveexec_b64 s[2:3], s[0:1]
	s_cbranch_execnz .LBB10_65
.LBB10_37:                              ;   in Loop: Header=BB10_9 Depth=1
	s_or_b64 exec, exec, s[2:3]
	v_cmp_gt_u32_e64 s[2:3], s26, v38
	s_and_saveexec_b64 s[4:5], s[2:3]
	s_cbranch_execnz .LBB10_66
.LBB10_38:                              ;   in Loop: Header=BB10_9 Depth=1
	s_or_b64 exec, exec, s[4:5]
	v_cmp_gt_u32_e64 s[4:5], s26, v39
	s_and_saveexec_b64 s[6:7], s[4:5]
	s_cbranch_execnz .LBB10_67
.LBB10_39:                              ;   in Loop: Header=BB10_9 Depth=1
	s_or_b64 exec, exec, s[6:7]
	v_cmp_gt_u32_e64 s[6:7], s26, v40
	s_and_saveexec_b64 s[8:9], s[6:7]
	s_cbranch_execnz .LBB10_68
.LBB10_40:                              ;   in Loop: Header=BB10_9 Depth=1
	s_or_b64 exec, exec, s[8:9]
	v_cmp_gt_u32_e64 s[8:9], s26, v41
	s_and_saveexec_b64 s[10:11], s[8:9]
	s_cbranch_execnz .LBB10_69
.LBB10_41:                              ;   in Loop: Header=BB10_9 Depth=1
	s_or_b64 exec, exec, s[10:11]
	v_cmp_gt_u32_e64 s[10:11], s26, v42
	s_and_saveexec_b64 s[12:13], s[10:11]
	s_cbranch_execnz .LBB10_70
.LBB10_42:                              ;   in Loop: Header=BB10_9 Depth=1
	s_or_b64 exec, exec, s[12:13]
	v_cmp_gt_u32_e64 s[12:13], s26, v43
	s_and_saveexec_b64 s[14:15], s[12:13]
	s_cbranch_execnz .LBB10_71
.LBB10_43:                              ;   in Loop: Header=BB10_9 Depth=1
	s_or_b64 exec, exec, s[14:15]
	v_cmp_gt_u32_e64 s[14:15], s26, v44
	s_and_saveexec_b64 s[16:17], s[14:15]
	s_cbranch_execnz .LBB10_72
.LBB10_44:                              ;   in Loop: Header=BB10_9 Depth=1
	s_or_b64 exec, exec, s[16:17]
	v_cmp_gt_u32_e64 s[16:17], s26, v45
	s_and_saveexec_b64 s[18:19], s[16:17]
	s_cbranch_execnz .LBB10_73
.LBB10_45:                              ;   in Loop: Header=BB10_9 Depth=1
	s_or_b64 exec, exec, s[18:19]
	v_cmp_gt_u32_e64 s[18:19], s26, v46
	s_and_saveexec_b64 s[20:21], s[18:19]
	s_cbranch_execnz .LBB10_74
.LBB10_46:                              ;   in Loop: Header=BB10_9 Depth=1
	s_or_b64 exec, exec, s[20:21]
	v_cmp_gt_u32_e64 s[20:21], s26, v47
	s_and_saveexec_b64 s[22:23], s[20:21]
	s_cbranch_execnz .LBB10_75
.LBB10_47:                              ;   in Loop: Header=BB10_9 Depth=1
	s_or_b64 exec, exec, s[22:23]
	v_cmp_gt_u32_e64 s[22:23], s26, v48
	s_and_saveexec_b64 s[24:25], s[22:23]
	s_cbranch_execnz .LBB10_76
.LBB10_48:                              ;   in Loop: Header=BB10_9 Depth=1
	s_or_b64 exec, exec, s[24:25]
	v_cmp_gt_u32_e64 s[24:25], s26, v49
	s_and_saveexec_b64 s[26:27], s[24:25]
	s_cbranch_execz .LBB10_50
.LBB10_49:                              ;   in Loop: Header=BB10_9 Depth=1
	s_waitcnt lgkmcnt(0)
	global_store_dwordx2 v[32:33], v[30:31], off offset:104
.LBB10_50:                              ;   in Loop: Header=BB10_9 Depth=1
	s_or_b64 exec, exec, s[26:27]
	v_mov_b32_e32 v5, s29
	v_add_co_u32_e64 v4, s[26:27], s28, v50
	v_addc_co_u32_e64 v5, s[26:27], v51, v5, s[26:27]
	s_and_saveexec_b64 s[26:27], vcc
	s_cbranch_execnz .LBB10_77
; %bb.51:                               ;   in Loop: Header=BB10_9 Depth=1
	s_or_b64 exec, exec, s[26:27]
	s_and_saveexec_b64 s[26:27], s[0:1]
	s_cbranch_execnz .LBB10_78
.LBB10_52:                              ;   in Loop: Header=BB10_9 Depth=1
	s_or_b64 exec, exec, s[26:27]
	s_and_saveexec_b64 s[0:1], s[2:3]
	s_cbranch_execnz .LBB10_79
.LBB10_53:                              ;   in Loop: Header=BB10_9 Depth=1
	s_or_b64 exec, exec, s[0:1]
	s_and_saveexec_b64 s[0:1], s[4:5]
	s_cbranch_execnz .LBB10_80
.LBB10_54:                              ;   in Loop: Header=BB10_9 Depth=1
	s_or_b64 exec, exec, s[0:1]
	s_and_saveexec_b64 s[0:1], s[6:7]
	s_cbranch_execnz .LBB10_81
.LBB10_55:                              ;   in Loop: Header=BB10_9 Depth=1
	s_or_b64 exec, exec, s[0:1]
	s_and_saveexec_b64 s[0:1], s[8:9]
	s_cbranch_execnz .LBB10_82
.LBB10_56:                              ;   in Loop: Header=BB10_9 Depth=1
	s_or_b64 exec, exec, s[0:1]
	s_and_saveexec_b64 s[0:1], s[10:11]
	s_cbranch_execnz .LBB10_83
.LBB10_57:                              ;   in Loop: Header=BB10_9 Depth=1
	s_or_b64 exec, exec, s[0:1]
	s_and_saveexec_b64 s[0:1], s[12:13]
	s_cbranch_execnz .LBB10_84
.LBB10_58:                              ;   in Loop: Header=BB10_9 Depth=1
	s_or_b64 exec, exec, s[0:1]
	s_and_saveexec_b64 s[0:1], s[14:15]
	s_cbranch_execnz .LBB10_85
.LBB10_59:                              ;   in Loop: Header=BB10_9 Depth=1
	s_or_b64 exec, exec, s[0:1]
	s_and_saveexec_b64 s[0:1], s[16:17]
	s_cbranch_execnz .LBB10_86
.LBB10_60:                              ;   in Loop: Header=BB10_9 Depth=1
	s_or_b64 exec, exec, s[0:1]
	s_and_saveexec_b64 s[0:1], s[18:19]
	s_cbranch_execnz .LBB10_87
.LBB10_61:                              ;   in Loop: Header=BB10_9 Depth=1
	s_or_b64 exec, exec, s[0:1]
	s_and_saveexec_b64 s[0:1], s[20:21]
	s_cbranch_execnz .LBB10_88
.LBB10_62:                              ;   in Loop: Header=BB10_9 Depth=1
	s_or_b64 exec, exec, s[0:1]
	s_and_saveexec_b64 s[0:1], s[22:23]
	s_cbranch_execnz .LBB10_89
.LBB10_63:                              ;   in Loop: Header=BB10_9 Depth=1
	s_or_b64 exec, exec, s[0:1]
	s_and_saveexec_b64 s[0:1], s[24:25]
	s_cbranch_execz .LBB10_8
	s_branch .LBB10_90
.LBB10_64:                              ;   in Loop: Header=BB10_9 Depth=1
	global_store_dwordx2 v[32:33], v[4:5], off
	s_or_b64 exec, exec, s[0:1]
	v_cmp_gt_u32_e64 s[0:1], s26, v37
	s_and_saveexec_b64 s[2:3], s[0:1]
	s_cbranch_execz .LBB10_37
.LBB10_65:                              ;   in Loop: Header=BB10_9 Depth=1
	global_store_dwordx2 v[32:33], v[6:7], off offset:8
	s_or_b64 exec, exec, s[2:3]
	v_cmp_gt_u32_e64 s[2:3], s26, v38
	s_and_saveexec_b64 s[4:5], s[2:3]
	s_cbranch_execz .LBB10_38
.LBB10_66:                              ;   in Loop: Header=BB10_9 Depth=1
	global_store_dwordx2 v[32:33], v[8:9], off offset:16
	s_or_b64 exec, exec, s[4:5]
	v_cmp_gt_u32_e64 s[4:5], s26, v39
	s_and_saveexec_b64 s[6:7], s[4:5]
	s_cbranch_execz .LBB10_39
.LBB10_67:                              ;   in Loop: Header=BB10_9 Depth=1
	global_store_dwordx2 v[32:33], v[10:11], off offset:24
	s_or_b64 exec, exec, s[6:7]
	v_cmp_gt_u32_e64 s[6:7], s26, v40
	s_and_saveexec_b64 s[8:9], s[6:7]
	s_cbranch_execz .LBB10_40
.LBB10_68:                              ;   in Loop: Header=BB10_9 Depth=1
	global_store_dwordx2 v[32:33], v[12:13], off offset:32
	s_or_b64 exec, exec, s[8:9]
	v_cmp_gt_u32_e64 s[8:9], s26, v41
	s_and_saveexec_b64 s[10:11], s[8:9]
	s_cbranch_execz .LBB10_41
.LBB10_69:                              ;   in Loop: Header=BB10_9 Depth=1
	global_store_dwordx2 v[32:33], v[14:15], off offset:40
	s_or_b64 exec, exec, s[10:11]
	v_cmp_gt_u32_e64 s[10:11], s26, v42
	s_and_saveexec_b64 s[12:13], s[10:11]
	s_cbranch_execz .LBB10_42
.LBB10_70:                              ;   in Loop: Header=BB10_9 Depth=1
	global_store_dwordx2 v[32:33], v[16:17], off offset:48
	s_or_b64 exec, exec, s[12:13]
	v_cmp_gt_u32_e64 s[12:13], s26, v43
	s_and_saveexec_b64 s[14:15], s[12:13]
	s_cbranch_execz .LBB10_43
.LBB10_71:                              ;   in Loop: Header=BB10_9 Depth=1
	global_store_dwordx2 v[32:33], v[18:19], off offset:56
	s_or_b64 exec, exec, s[14:15]
	v_cmp_gt_u32_e64 s[14:15], s26, v44
	s_and_saveexec_b64 s[16:17], s[14:15]
	s_cbranch_execz .LBB10_44
.LBB10_72:                              ;   in Loop: Header=BB10_9 Depth=1
	global_store_dwordx2 v[32:33], v[20:21], off offset:64
	s_or_b64 exec, exec, s[16:17]
	v_cmp_gt_u32_e64 s[16:17], s26, v45
	s_and_saveexec_b64 s[18:19], s[16:17]
	s_cbranch_execz .LBB10_45
.LBB10_73:                              ;   in Loop: Header=BB10_9 Depth=1
	global_store_dwordx2 v[32:33], v[22:23], off offset:72
	s_or_b64 exec, exec, s[18:19]
	v_cmp_gt_u32_e64 s[18:19], s26, v46
	s_and_saveexec_b64 s[20:21], s[18:19]
	s_cbranch_execz .LBB10_46
.LBB10_74:                              ;   in Loop: Header=BB10_9 Depth=1
	global_store_dwordx2 v[32:33], v[24:25], off offset:80
	s_or_b64 exec, exec, s[20:21]
	v_cmp_gt_u32_e64 s[20:21], s26, v47
	s_and_saveexec_b64 s[22:23], s[20:21]
	s_cbranch_execz .LBB10_47
.LBB10_75:                              ;   in Loop: Header=BB10_9 Depth=1
	global_store_dwordx2 v[32:33], v[26:27], off offset:88
	s_or_b64 exec, exec, s[22:23]
	v_cmp_gt_u32_e64 s[22:23], s26, v48
	s_and_saveexec_b64 s[24:25], s[22:23]
	s_cbranch_execz .LBB10_48
.LBB10_76:                              ;   in Loop: Header=BB10_9 Depth=1
	global_store_dwordx2 v[32:33], v[28:29], off offset:96
	s_or_b64 exec, exec, s[24:25]
	v_cmp_gt_u32_e64 s[24:25], s26, v49
	s_and_saveexec_b64 s[26:27], s[24:25]
	s_cbranch_execnz .LBB10_49
	s_branch .LBB10_50
.LBB10_77:                              ;   in Loop: Header=BB10_9 Depth=1
	v_sub_u32_e32 v2, v34, v2
	global_store_byte v[4:5], v2, off
	s_or_b64 exec, exec, s[26:27]
	s_and_saveexec_b64 s[26:27], s[0:1]
	s_cbranch_execz .LBB10_52
.LBB10_78:                              ;   in Loop: Header=BB10_9 Depth=1
	v_add_u32_e32 v2, 1, v57
	global_store_byte v[4:5], v2, off offset:1
	s_or_b64 exec, exec, s[26:27]
	s_and_saveexec_b64 s[0:1], s[2:3]
	s_cbranch_execz .LBB10_53
.LBB10_79:                              ;   in Loop: Header=BB10_9 Depth=1
	v_add_u32_e32 v2, 2, v58
	global_store_byte v[4:5], v2, off offset:2
	s_or_b64 exec, exec, s[0:1]
	s_and_saveexec_b64 s[0:1], s[4:5]
	s_cbranch_execz .LBB10_54
.LBB10_80:                              ;   in Loop: Header=BB10_9 Depth=1
	v_add_u32_e32 v2, 3, v59
	global_store_byte v[4:5], v2, off offset:3
	s_or_b64 exec, exec, s[0:1]
	s_and_saveexec_b64 s[0:1], s[6:7]
	s_cbranch_execz .LBB10_55
.LBB10_81:                              ;   in Loop: Header=BB10_9 Depth=1
	v_add_u32_e32 v2, 4, v60
	global_store_byte v[4:5], v2, off offset:4
	s_or_b64 exec, exec, s[0:1]
	s_and_saveexec_b64 s[0:1], s[8:9]
	s_cbranch_execz .LBB10_56
.LBB10_82:                              ;   in Loop: Header=BB10_9 Depth=1
	v_add_u32_e32 v2, 5, v61
	global_store_byte v[4:5], v2, off offset:5
	s_or_b64 exec, exec, s[0:1]
	s_and_saveexec_b64 s[0:1], s[10:11]
	s_cbranch_execz .LBB10_57
.LBB10_83:                              ;   in Loop: Header=BB10_9 Depth=1
	v_add_u32_e32 v2, 6, v62
	global_store_byte v[4:5], v2, off offset:6
	s_or_b64 exec, exec, s[0:1]
	s_and_saveexec_b64 s[0:1], s[12:13]
	s_cbranch_execz .LBB10_58
.LBB10_84:                              ;   in Loop: Header=BB10_9 Depth=1
	v_add_u32_e32 v2, 7, v63
	global_store_byte v[4:5], v2, off offset:7
	s_or_b64 exec, exec, s[0:1]
	s_and_saveexec_b64 s[0:1], s[14:15]
	s_cbranch_execz .LBB10_59
.LBB10_85:                              ;   in Loop: Header=BB10_9 Depth=1
	v_add_u32_e32 v2, 8, v64
	global_store_byte v[4:5], v2, off offset:8
	s_or_b64 exec, exec, s[0:1]
	s_and_saveexec_b64 s[0:1], s[16:17]
	s_cbranch_execz .LBB10_60
.LBB10_86:                              ;   in Loop: Header=BB10_9 Depth=1
	v_add_u32_e32 v2, 9, v65
	global_store_byte v[4:5], v2, off offset:9
	s_or_b64 exec, exec, s[0:1]
	s_and_saveexec_b64 s[0:1], s[18:19]
	s_cbranch_execz .LBB10_61
.LBB10_87:                              ;   in Loop: Header=BB10_9 Depth=1
	v_add_u32_e32 v2, 10, v66
	global_store_byte v[4:5], v2, off offset:10
	s_or_b64 exec, exec, s[0:1]
	s_and_saveexec_b64 s[0:1], s[20:21]
	s_cbranch_execz .LBB10_62
.LBB10_88:                              ;   in Loop: Header=BB10_9 Depth=1
	v_add_u32_e32 v2, 11, v67
	global_store_byte v[4:5], v2, off offset:11
	s_or_b64 exec, exec, s[0:1]
	s_and_saveexec_b64 s[0:1], s[22:23]
	s_cbranch_execz .LBB10_63
.LBB10_89:                              ;   in Loop: Header=BB10_9 Depth=1
	v_add_u32_e32 v2, 12, v68
	global_store_byte v[4:5], v2, off offset:12
	s_or_b64 exec, exec, s[0:1]
	s_and_saveexec_b64 s[0:1], s[24:25]
	s_cbranch_execz .LBB10_8
.LBB10_90:                              ;   in Loop: Header=BB10_9 Depth=1
	v_add_u32_e32 v2, 13, v3
	global_store_byte v[4:5], v2, off offset:13
	s_branch .LBB10_8
.LBB10_91:
	s_endpgm
	.section	.rodata,"a",@progbits
	.p2align	6, 0x0
	.amdhsa_kernel _Z30block_run_length_decode_kernelIdcLj256ELj1ELj14EEvPKT_PKT0_PS0_PS3_
		.amdhsa_group_segment_fixed_size 3072
		.amdhsa_private_segment_fixed_size 0
		.amdhsa_kernarg_size 32
		.amdhsa_user_sgpr_count 6
		.amdhsa_user_sgpr_private_segment_buffer 1
		.amdhsa_user_sgpr_dispatch_ptr 0
		.amdhsa_user_sgpr_queue_ptr 0
		.amdhsa_user_sgpr_kernarg_segment_ptr 1
		.amdhsa_user_sgpr_dispatch_id 0
		.amdhsa_user_sgpr_flat_scratch_init 0
		.amdhsa_user_sgpr_kernarg_preload_length 0
		.amdhsa_user_sgpr_kernarg_preload_offset 0
		.amdhsa_user_sgpr_private_segment_size 0
		.amdhsa_uses_dynamic_stack 0
		.amdhsa_system_sgpr_private_segment_wavefront_offset 0
		.amdhsa_system_sgpr_workgroup_id_x 1
		.amdhsa_system_sgpr_workgroup_id_y 0
		.amdhsa_system_sgpr_workgroup_id_z 0
		.amdhsa_system_sgpr_workgroup_info 0
		.amdhsa_system_vgpr_workitem_id 0
		.amdhsa_next_free_vgpr 69
		.amdhsa_next_free_sgpr 32
		.amdhsa_accum_offset 72
		.amdhsa_reserve_vcc 1
		.amdhsa_reserve_flat_scratch 0
		.amdhsa_float_round_mode_32 0
		.amdhsa_float_round_mode_16_64 0
		.amdhsa_float_denorm_mode_32 3
		.amdhsa_float_denorm_mode_16_64 3
		.amdhsa_dx10_clamp 1
		.amdhsa_ieee_mode 1
		.amdhsa_fp16_overflow 0
		.amdhsa_tg_split 0
		.amdhsa_exception_fp_ieee_invalid_op 0
		.amdhsa_exception_fp_denorm_src 0
		.amdhsa_exception_fp_ieee_div_zero 0
		.amdhsa_exception_fp_ieee_overflow 0
		.amdhsa_exception_fp_ieee_underflow 0
		.amdhsa_exception_fp_ieee_inexact 0
		.amdhsa_exception_int_div_zero 0
	.end_amdhsa_kernel
	.section	.text._Z30block_run_length_decode_kernelIdcLj256ELj1ELj14EEvPKT_PKT0_PS0_PS3_,"axG",@progbits,_Z30block_run_length_decode_kernelIdcLj256ELj1ELj14EEvPKT_PKT0_PS0_PS3_,comdat
.Lfunc_end10:
	.size	_Z30block_run_length_decode_kernelIdcLj256ELj1ELj14EEvPKT_PKT0_PS0_PS3_, .Lfunc_end10-_Z30block_run_length_decode_kernelIdcLj256ELj1ELj14EEvPKT_PKT0_PS0_PS3_
                                        ; -- End function
	.section	.AMDGPU.csdata,"",@progbits
; Kernel info:
; codeLenInByte = 3472
; NumSgprs: 36
; NumVgprs: 69
; NumAgprs: 0
; TotalNumVgprs: 69
; ScratchSize: 0
; MemoryBound: 0
; FloatMode: 240
; IeeeMode: 1
; LDSByteSize: 3072 bytes/workgroup (compile time only)
; SGPRBlocks: 4
; VGPRBlocks: 8
; NumSGPRsForWavesPerEU: 36
; NumVGPRsForWavesPerEU: 69
; AccumOffset: 72
; Occupancy: 7
; WaveLimiterHint : 0
; COMPUTE_PGM_RSRC2:SCRATCH_EN: 0
; COMPUTE_PGM_RSRC2:USER_SGPR: 6
; COMPUTE_PGM_RSRC2:TRAP_HANDLER: 0
; COMPUTE_PGM_RSRC2:TGID_X_EN: 1
; COMPUTE_PGM_RSRC2:TGID_Y_EN: 0
; COMPUTE_PGM_RSRC2:TGID_Z_EN: 0
; COMPUTE_PGM_RSRC2:TIDIG_COMP_CNT: 0
; COMPUTE_PGM_RSRC3_GFX90A:ACCUM_OFFSET: 17
; COMPUTE_PGM_RSRC3_GFX90A:TG_SPLIT: 0
	.section	.text._Z30block_run_length_decode_kernelIiiLj256ELj1ELj14EEvPKT_PKT0_PS0_PS3_,"axG",@progbits,_Z30block_run_length_decode_kernelIiiLj256ELj1ELj14EEvPKT_PKT0_PS0_PS3_,comdat
	.protected	_Z30block_run_length_decode_kernelIiiLj256ELj1ELj14EEvPKT_PKT0_PS0_PS3_ ; -- Begin function _Z30block_run_length_decode_kernelIiiLj256ELj1ELj14EEvPKT_PKT0_PS0_PS3_
	.globl	_Z30block_run_length_decode_kernelIiiLj256ELj1ELj14EEvPKT_PKT0_PS0_PS3_
	.p2align	8
	.type	_Z30block_run_length_decode_kernelIiiLj256ELj1ELj14EEvPKT_PKT0_PS0_PS3_,@function
_Z30block_run_length_decode_kernelIiiLj256ELj1ELj14EEvPKT_PKT0_PS0_PS3_: ; @_Z30block_run_length_decode_kernelIiiLj256ELj1ELj14EEvPKT_PKT0_PS0_PS3_
; %bb.0:
	s_load_dwordx8 s[8:15], s[4:5], 0x0
	v_lshl_or_b32 v2, s6, 8, v0
	v_mov_b32_e32 v3, 0
	v_lshlrev_b64 v[4:5], 2, v[2:3]
	v_mbcnt_lo_u32_b32 v3, -1, 0
	s_waitcnt lgkmcnt(0)
	v_mov_b32_e32 v1, s11
	v_add_co_u32_e32 v6, vcc, s10, v4
	v_addc_co_u32_e32 v7, vcc, v1, v5, vcc
	global_load_dword v6, v[6:7], off
	v_mov_b32_e32 v1, s9
	v_add_co_u32_e32 v4, vcc, s8, v4
	v_addc_co_u32_e32 v5, vcc, v1, v5, vcc
	global_load_dword v1, v[4:5], off
	v_mbcnt_hi_u32_b32 v3, -1, v3
	v_and_b32_e32 v7, 15, v3
	v_cmp_ne_u32_e32 vcc, 0, v7
	v_bfe_i32 v8, v3, 4, 1
	v_or_b32_e32 v5, 63, v0
	v_lshrrev_b32_e32 v4, 6, v0
	s_waitcnt vmcnt(1)
	v_mov_b32_dpp v9, v6 row_shr:1 row_mask:0xf bank_mask:0xf
	v_cndmask_b32_e32 v9, 0, v9, vcc
	v_add_u32_e32 v6, v9, v6
	v_cmp_lt_u32_e32 vcc, 1, v7
	s_nop 0
	v_mov_b32_dpp v9, v6 row_shr:2 row_mask:0xf bank_mask:0xf
	v_cndmask_b32_e32 v9, 0, v9, vcc
	v_add_u32_e32 v6, v6, v9
	v_cmp_lt_u32_e32 vcc, 3, v7
	s_nop 0
	v_mov_b32_dpp v9, v6 row_shr:4 row_mask:0xf bank_mask:0xf
	v_cndmask_b32_e32 v9, 0, v9, vcc
	v_add_u32_e32 v6, v6, v9
	v_cmp_lt_u32_e32 vcc, 7, v7
	s_nop 0
	v_mov_b32_dpp v9, v6 row_shr:8 row_mask:0xf bank_mask:0xf
	v_cndmask_b32_e32 v7, 0, v9, vcc
	v_add_u32_e32 v6, v6, v7
	v_cmp_lt_u32_e32 vcc, 31, v3
	s_nop 0
	v_mov_b32_dpp v7, v6 row_bcast:15 row_mask:0xf bank_mask:0xf
	v_and_b32_e32 v7, v8, v7
	v_add_u32_e32 v6, v6, v7
	s_nop 1
	v_mov_b32_dpp v7, v6 row_bcast:31 row_mask:0xf bank_mask:0xf
	v_cndmask_b32_e32 v7, 0, v7, vcc
	v_add_u32_e32 v6, v6, v7
	v_cmp_eq_u32_e32 vcc, v5, v0
	s_and_saveexec_b64 s[0:1], vcc
	s_cbranch_execz .LBB11_2
; %bb.1:
	v_lshlrev_b32_e32 v5, 2, v4
	ds_write_b32 v5, v6
.LBB11_2:
	s_or_b64 exec, exec, s[0:1]
	v_cmp_gt_u32_e32 vcc, 4, v0
	v_lshlrev_b32_e32 v5, 2, v0
	s_waitcnt lgkmcnt(0)
	s_barrier
	s_and_saveexec_b64 s[0:1], vcc
	s_cbranch_execz .LBB11_4
; %bb.3:
	ds_read_b32 v7, v5
	v_and_b32_e32 v8, 3, v3
	v_cmp_ne_u32_e32 vcc, 0, v8
	s_waitcnt lgkmcnt(0)
	v_mov_b32_dpp v9, v7 row_shr:1 row_mask:0xf bank_mask:0xf
	v_cndmask_b32_e32 v9, 0, v9, vcc
	v_add_u32_e32 v7, v9, v7
	v_cmp_lt_u32_e32 vcc, 1, v8
	s_nop 0
	v_mov_b32_dpp v9, v7 row_shr:2 row_mask:0xf bank_mask:0xf
	v_cndmask_b32_e32 v8, 0, v9, vcc
	v_add_u32_e32 v7, v7, v8
	ds_write_b32 v5, v7
.LBB11_4:
	s_or_b64 exec, exec, s[0:1]
	v_cmp_lt_u32_e32 vcc, 63, v0
	v_mov_b32_e32 v7, 0
	v_mov_b32_e32 v8, 0
	s_waitcnt lgkmcnt(0)
	s_barrier
	s_and_saveexec_b64 s[0:1], vcc
	s_cbranch_execz .LBB11_6
; %bb.5:
	v_lshl_add_u32 v4, v4, 2, -4
	ds_read_b32 v8, v4
.LBB11_6:
	s_or_b64 exec, exec, s[0:1]
	s_waitcnt lgkmcnt(0)
	v_add_u32_e32 v4, v8, v6
	v_add_u32_e32 v6, -1, v3
	v_and_b32_e32 v9, 64, v3
	v_cmp_lt_i32_e32 vcc, v6, v9
	v_cndmask_b32_e32 v6, v6, v3, vcc
	v_lshlrev_b32_e32 v6, 2, v6
	ds_bpermute_b32 v4, v6, v4
	ds_read_b32 v6, v7 offset:12
	v_cmp_eq_u32_e32 vcc, 0, v3
	s_mov_b32 s29, 0
	s_waitcnt lgkmcnt(0)
	v_cndmask_b32_e32 v3, v4, v8, vcc
	v_cmp_eq_u32_e32 vcc, 0, v6
	v_readfirstlane_b32 s33, v6
	s_and_b64 vcc, exec, vcc
	s_barrier
	s_waitcnt vmcnt(0)
	ds_write2st64_b32 v5, v1, v3 offset1:4
	s_waitcnt lgkmcnt(0)
	s_barrier
	s_cbranch_vccnz .LBB11_91
; %bb.7:
	v_mul_u32_u24_e32 v6, 14, v0
	v_mov_b32_e32 v1, 0
	v_mul_lo_u32 v0, v2, 14
	ds_read_b32 v7, v1 offset:1536
	v_lshlrev_b64 v[2:3], 2, v[0:1]
	v_mov_b32_e32 v4, s13
	v_add_co_u32_e32 v1, vcc, s12, v2
	v_addc_co_u32_e32 v8, vcc, v4, v3, vcc
	v_mov_b32_e32 v4, s15
	v_add_co_u32_e32 v22, vcc, s14, v2
	v_or_b32_e32 v9, 1, v0
	v_add_u32_e32 v10, 2, v0
	v_add_u32_e32 v11, 3, v0
	;; [unrolled: 1-line block ×12, first 2 shown]
	v_addc_co_u32_e32 v23, vcc, v4, v3, vcc
	v_mov_b32_e32 v24, 0x81
	v_mov_b32_e32 v25, 0x100
	;; [unrolled: 1-line block ×4, first 2 shown]
	s_mov_b32 s34, s33
	s_mov_b32 s28, s29
	s_branch .LBB11_9
.LBB11_8:                               ;   in Loop: Header=BB11_9 Depth=1
	s_or_b64 exec, exec, s[0:1]
	s_addk_i32 s28, 0xe00
	s_addk_i32 s34, 0xf200
	s_cmp_lt_u32 s28, s33
	s_cbranch_scc0 .LBB11_91
.LBB11_9:                               ; =>This Inner Loop Header: Depth=1
	v_add_u32_e32 v4, s28, v6
	s_waitcnt lgkmcnt(0)
	v_cmp_gt_u32_e32 vcc, v7, v4
	v_cndmask_b32_e64 v3, v27, 64, vcc
	v_lshlrev_b32_e32 v5, 2, v3
	ds_read_b32 v5, v5 offset:1024
	v_cndmask_b32_e64 v2, v24, 0, vcc
	v_cndmask_b32_e32 v28, v25, v26, vcc
	v_or_b32_e32 v29, 1, v3
	s_waitcnt lgkmcnt(0)
	v_cmp_gt_u32_e32 vcc, v5, v4
	v_cndmask_b32_e32 v2, v29, v2, vcc
	v_cndmask_b32_e32 v3, v28, v3, vcc
	v_sub_u32_e32 v5, v3, v2
	v_lshrrev_b16_e32 v28, 15, v5
	v_add_u16_e32 v5, v5, v28
	v_ashrrev_i16_e32 v5, 1, v5
	v_add_u32_sdwa v5, v2, sext(v5) dst_sel:DWORD dst_unused:UNUSED_PAD src0_sel:DWORD src1_sel:WORD_0
	v_min_i32_e32 v5, 0xff, v5
	v_lshlrev_b32_e32 v28, 2, v5
	ds_read_b32 v28, v28 offset:1024
	v_add_u32_e32 v29, 1, v5
	s_waitcnt lgkmcnt(0)
	v_cmp_gt_u32_e32 vcc, v28, v4
	v_cndmask_b32_e32 v2, v29, v2, vcc
	v_cndmask_b32_e32 v3, v3, v5, vcc
	v_sub_u32_e32 v5, v3, v2
	v_lshrrev_b16_e32 v28, 15, v5
	v_add_u16_e32 v5, v5, v28
	v_ashrrev_i16_e32 v5, 1, v5
	v_add_u32_sdwa v5, v2, sext(v5) dst_sel:DWORD dst_unused:UNUSED_PAD src0_sel:DWORD src1_sel:WORD_0
	v_min_i32_e32 v5, 0xff, v5
	v_lshlrev_b32_e32 v28, 2, v5
	ds_read_b32 v28, v28 offset:1024
	v_add_u32_e32 v29, 1, v5
	;; [unrolled: 13-line block ×7, first 2 shown]
	s_waitcnt lgkmcnt(0)
	v_cmp_gt_u32_e32 vcc, v5, v4
	v_cndmask_b32_e32 v5, v3, v2, vcc
	v_lshlrev_b32_e32 v30, 2, v5
	v_add_u32_e32 v2, 0x3fc, v30
	ds_read2_b32 v[2:3], v2 offset1:1
	v_add_u32_e32 v28, -4, v30
	ds_read_b32 v36, v28
	v_add_u32_e32 v28, 1, v4
	s_waitcnt lgkmcnt(1)
	v_sub_u32_e32 v29, v4, v2
	v_cmp_eq_u32_e32 vcc, v28, v3
	v_mov_b32_e32 v28, v29
	s_waitcnt lgkmcnt(0)
	v_mov_b32_e32 v37, v36
	s_and_saveexec_b64 s[0:1], vcc
	s_cbranch_execz .LBB11_11
; %bb.10:                               ;   in Loop: Header=BB11_9 Depth=1
	ds_read_b32 v2, v30 offset:1028
	ds_read_b32 v37, v30
	v_add_u32_e32 v5, 1, v5
	v_sub_u32_e32 v28, v4, v3
	s_waitcnt lgkmcnt(1)
	v_mov_b32_e32 v3, v2
.LBB11_11:                              ;   in Loop: Header=BB11_9 Depth=1
	s_or_b64 exec, exec, s[0:1]
	v_add_u32_e32 v2, 2, v4
	v_cmp_eq_u32_e32 vcc, v2, v3
	v_mov_b32_e32 v30, v28
	s_waitcnt lgkmcnt(0)
	v_mov_b32_e32 v39, v37
	s_and_saveexec_b64 s[0:1], vcc
	s_cbranch_execz .LBB11_13
; %bb.12:                               ;   in Loop: Header=BB11_9 Depth=1
	v_lshlrev_b32_e32 v2, 2, v5
	ds_read_b32 v31, v2 offset:1028
	ds_read_b32 v39, v2
	v_add_u32_e32 v5, 1, v5
	v_sub_u32_e32 v30, v4, v3
	s_waitcnt lgkmcnt(1)
	v_mov_b32_e32 v3, v31
.LBB11_13:                              ;   in Loop: Header=BB11_9 Depth=1
	s_or_b64 exec, exec, s[0:1]
	v_add_u32_e32 v2, 3, v4
	v_cmp_eq_u32_e32 vcc, v2, v3
	v_mov_b32_e32 v31, v30
	s_waitcnt lgkmcnt(0)
	v_mov_b32_e32 v41, v39
	s_and_saveexec_b64 s[0:1], vcc
	s_cbranch_execz .LBB11_15
; %bb.14:                               ;   in Loop: Header=BB11_9 Depth=1
	v_lshlrev_b32_e32 v31, 2, v5
	v_add_u32_e32 v2, 0x400, v31
	ds_read2_b32 v[2:3], v2 offset1:1
	ds_read_b32 v41, v31
	v_add_u32_e32 v5, 1, v5
	s_waitcnt lgkmcnt(1)
	v_sub_u32_e32 v31, v4, v2
.LBB11_15:                              ;   in Loop: Header=BB11_9 Depth=1
	s_or_b64 exec, exec, s[0:1]
	v_add_u32_e32 v2, 4, v4
	v_cmp_eq_u32_e32 vcc, v2, v3
	v_mov_b32_e32 v32, v31
	s_waitcnt lgkmcnt(0)
	v_mov_b32_e32 v43, v41
	s_and_saveexec_b64 s[0:1], vcc
	s_cbranch_execz .LBB11_17
; %bb.16:                               ;   in Loop: Header=BB11_9 Depth=1
	v_lshlrev_b32_e32 v32, 2, v5
	v_add_u32_e32 v2, 0x400, v32
	ds_read2_b32 v[2:3], v2 offset1:1
	ds_read_b32 v43, v32
	v_add_u32_e32 v5, 1, v5
	s_waitcnt lgkmcnt(1)
	v_sub_u32_e32 v32, v4, v2
.LBB11_17:                              ;   in Loop: Header=BB11_9 Depth=1
	;; [unrolled: 17-line block ×10, first 2 shown]
	s_or_b64 exec, exec, s[0:1]
	v_add_u32_e32 v2, 13, v4
	v_cmp_eq_u32_e32 vcc, v2, v3
	v_mov_b32_e32 v47, v46
	s_waitcnt lgkmcnt(0)
	v_mov_b32_e32 v2, v54
	s_and_saveexec_b64 s[0:1], vcc
	s_cbranch_execz .LBB11_35
; %bb.34:                               ;   in Loop: Header=BB11_9 Depth=1
	v_lshlrev_b32_e32 v2, 2, v5
	ds_read2st64_b32 v[2:3], v2 offset1:4
	s_waitcnt lgkmcnt(0)
	v_sub_u32_e32 v47, v4, v3
.LBB11_35:                              ;   in Loop: Header=BB11_9 Depth=1
	s_or_b64 exec, exec, s[0:1]
	s_lshl_b64 s[26:27], s[28:29], 2
	v_mov_b32_e32 v3, s27
	v_add_co_u32_e32 v4, vcc, s26, v1
	s_min_u32 s30, s34, 0xe00
	v_addc_co_u32_e32 v5, vcc, v8, v3, vcc
	v_cmp_gt_u32_e32 vcc, s30, v0
	s_and_saveexec_b64 s[0:1], vcc
	s_cbranch_execnz .LBB11_64
; %bb.36:                               ;   in Loop: Header=BB11_9 Depth=1
	s_or_b64 exec, exec, s[0:1]
	v_cmp_gt_u32_e64 s[0:1], s30, v9
	s_and_saveexec_b64 s[2:3], s[0:1]
	s_cbranch_execnz .LBB11_65
.LBB11_37:                              ;   in Loop: Header=BB11_9 Depth=1
	s_or_b64 exec, exec, s[2:3]
	v_cmp_gt_u32_e64 s[2:3], s30, v10
	s_and_saveexec_b64 s[4:5], s[2:3]
	s_cbranch_execnz .LBB11_66
.LBB11_38:                              ;   in Loop: Header=BB11_9 Depth=1
	s_or_b64 exec, exec, s[4:5]
	v_cmp_gt_u32_e64 s[4:5], s30, v11
	s_and_saveexec_b64 s[6:7], s[4:5]
	s_cbranch_execnz .LBB11_67
.LBB11_39:                              ;   in Loop: Header=BB11_9 Depth=1
	s_or_b64 exec, exec, s[6:7]
	v_cmp_gt_u32_e64 s[6:7], s30, v12
	s_and_saveexec_b64 s[8:9], s[6:7]
	s_cbranch_execnz .LBB11_68
.LBB11_40:                              ;   in Loop: Header=BB11_9 Depth=1
	s_or_b64 exec, exec, s[8:9]
	v_cmp_gt_u32_e64 s[8:9], s30, v13
	s_and_saveexec_b64 s[10:11], s[8:9]
	s_cbranch_execnz .LBB11_69
.LBB11_41:                              ;   in Loop: Header=BB11_9 Depth=1
	s_or_b64 exec, exec, s[10:11]
	v_cmp_gt_u32_e64 s[10:11], s30, v14
	s_and_saveexec_b64 s[12:13], s[10:11]
	s_cbranch_execnz .LBB11_70
.LBB11_42:                              ;   in Loop: Header=BB11_9 Depth=1
	s_or_b64 exec, exec, s[12:13]
	v_cmp_gt_u32_e64 s[12:13], s30, v15
	s_and_saveexec_b64 s[14:15], s[12:13]
	s_cbranch_execnz .LBB11_71
.LBB11_43:                              ;   in Loop: Header=BB11_9 Depth=1
	s_or_b64 exec, exec, s[14:15]
	v_cmp_gt_u32_e64 s[14:15], s30, v16
	s_and_saveexec_b64 s[16:17], s[14:15]
	s_cbranch_execnz .LBB11_72
.LBB11_44:                              ;   in Loop: Header=BB11_9 Depth=1
	s_or_b64 exec, exec, s[16:17]
	v_cmp_gt_u32_e64 s[16:17], s30, v17
	s_and_saveexec_b64 s[18:19], s[16:17]
	s_cbranch_execnz .LBB11_73
.LBB11_45:                              ;   in Loop: Header=BB11_9 Depth=1
	s_or_b64 exec, exec, s[18:19]
	v_cmp_gt_u32_e64 s[18:19], s30, v18
	s_and_saveexec_b64 s[20:21], s[18:19]
	s_cbranch_execnz .LBB11_74
.LBB11_46:                              ;   in Loop: Header=BB11_9 Depth=1
	s_or_b64 exec, exec, s[20:21]
	v_cmp_gt_u32_e64 s[20:21], s30, v19
	s_and_saveexec_b64 s[22:23], s[20:21]
	s_cbranch_execnz .LBB11_75
.LBB11_47:                              ;   in Loop: Header=BB11_9 Depth=1
	s_or_b64 exec, exec, s[22:23]
	v_cmp_gt_u32_e64 s[22:23], s30, v20
	s_and_saveexec_b64 s[24:25], s[22:23]
	s_cbranch_execnz .LBB11_76
.LBB11_48:                              ;   in Loop: Header=BB11_9 Depth=1
	s_or_b64 exec, exec, s[24:25]
	v_cmp_gt_u32_e64 s[24:25], s30, v21
	s_and_saveexec_b64 s[30:31], s[24:25]
	s_cbranch_execz .LBB11_50
.LBB11_49:                              ;   in Loop: Header=BB11_9 Depth=1
	global_store_dword v[4:5], v2, off offset:52
.LBB11_50:                              ;   in Loop: Header=BB11_9 Depth=1
	s_or_b64 exec, exec, s[30:31]
	v_mov_b32_e32 v3, s27
	v_add_co_u32_e64 v2, s[26:27], s26, v22
	v_addc_co_u32_e64 v3, s[26:27], v23, v3, s[26:27]
	s_and_saveexec_b64 s[26:27], vcc
	s_cbranch_execnz .LBB11_77
; %bb.51:                               ;   in Loop: Header=BB11_9 Depth=1
	s_or_b64 exec, exec, s[26:27]
	s_and_saveexec_b64 s[26:27], s[0:1]
	s_cbranch_execnz .LBB11_78
.LBB11_52:                              ;   in Loop: Header=BB11_9 Depth=1
	s_or_b64 exec, exec, s[26:27]
	s_and_saveexec_b64 s[0:1], s[2:3]
	s_cbranch_execnz .LBB11_79
.LBB11_53:                              ;   in Loop: Header=BB11_9 Depth=1
	s_or_b64 exec, exec, s[0:1]
	s_and_saveexec_b64 s[0:1], s[4:5]
	s_cbranch_execnz .LBB11_80
.LBB11_54:                              ;   in Loop: Header=BB11_9 Depth=1
	s_or_b64 exec, exec, s[0:1]
	s_and_saveexec_b64 s[0:1], s[6:7]
	s_cbranch_execnz .LBB11_81
.LBB11_55:                              ;   in Loop: Header=BB11_9 Depth=1
	s_or_b64 exec, exec, s[0:1]
	s_and_saveexec_b64 s[0:1], s[8:9]
	s_cbranch_execnz .LBB11_82
.LBB11_56:                              ;   in Loop: Header=BB11_9 Depth=1
	s_or_b64 exec, exec, s[0:1]
	s_and_saveexec_b64 s[0:1], s[10:11]
	s_cbranch_execnz .LBB11_83
.LBB11_57:                              ;   in Loop: Header=BB11_9 Depth=1
	s_or_b64 exec, exec, s[0:1]
	s_and_saveexec_b64 s[0:1], s[12:13]
	s_cbranch_execnz .LBB11_84
.LBB11_58:                              ;   in Loop: Header=BB11_9 Depth=1
	s_or_b64 exec, exec, s[0:1]
	s_and_saveexec_b64 s[0:1], s[14:15]
	s_cbranch_execnz .LBB11_85
.LBB11_59:                              ;   in Loop: Header=BB11_9 Depth=1
	s_or_b64 exec, exec, s[0:1]
	s_and_saveexec_b64 s[0:1], s[16:17]
	s_cbranch_execnz .LBB11_86
.LBB11_60:                              ;   in Loop: Header=BB11_9 Depth=1
	s_or_b64 exec, exec, s[0:1]
	s_and_saveexec_b64 s[0:1], s[18:19]
	s_cbranch_execnz .LBB11_87
.LBB11_61:                              ;   in Loop: Header=BB11_9 Depth=1
	s_or_b64 exec, exec, s[0:1]
	s_and_saveexec_b64 s[0:1], s[20:21]
	s_cbranch_execnz .LBB11_88
.LBB11_62:                              ;   in Loop: Header=BB11_9 Depth=1
	s_or_b64 exec, exec, s[0:1]
	s_and_saveexec_b64 s[0:1], s[22:23]
	s_cbranch_execnz .LBB11_89
.LBB11_63:                              ;   in Loop: Header=BB11_9 Depth=1
	s_or_b64 exec, exec, s[0:1]
	s_and_saveexec_b64 s[0:1], s[24:25]
	s_cbranch_execz .LBB11_8
	s_branch .LBB11_90
.LBB11_64:                              ;   in Loop: Header=BB11_9 Depth=1
	global_store_dword v[4:5], v36, off
	s_or_b64 exec, exec, s[0:1]
	v_cmp_gt_u32_e64 s[0:1], s30, v9
	s_and_saveexec_b64 s[2:3], s[0:1]
	s_cbranch_execz .LBB11_37
.LBB11_65:                              ;   in Loop: Header=BB11_9 Depth=1
	global_store_dword v[4:5], v37, off offset:4
	s_or_b64 exec, exec, s[2:3]
	v_cmp_gt_u32_e64 s[2:3], s30, v10
	s_and_saveexec_b64 s[4:5], s[2:3]
	s_cbranch_execz .LBB11_38
.LBB11_66:                              ;   in Loop: Header=BB11_9 Depth=1
	global_store_dword v[4:5], v39, off offset:8
	s_or_b64 exec, exec, s[4:5]
	v_cmp_gt_u32_e64 s[4:5], s30, v11
	s_and_saveexec_b64 s[6:7], s[4:5]
	s_cbranch_execz .LBB11_39
.LBB11_67:                              ;   in Loop: Header=BB11_9 Depth=1
	global_store_dword v[4:5], v41, off offset:12
	s_or_b64 exec, exec, s[6:7]
	v_cmp_gt_u32_e64 s[6:7], s30, v12
	s_and_saveexec_b64 s[8:9], s[6:7]
	s_cbranch_execz .LBB11_40
.LBB11_68:                              ;   in Loop: Header=BB11_9 Depth=1
	global_store_dword v[4:5], v43, off offset:16
	s_or_b64 exec, exec, s[8:9]
	v_cmp_gt_u32_e64 s[8:9], s30, v13
	s_and_saveexec_b64 s[10:11], s[8:9]
	s_cbranch_execz .LBB11_41
.LBB11_69:                              ;   in Loop: Header=BB11_9 Depth=1
	global_store_dword v[4:5], v45, off offset:20
	s_or_b64 exec, exec, s[10:11]
	v_cmp_gt_u32_e64 s[10:11], s30, v14
	s_and_saveexec_b64 s[12:13], s[10:11]
	s_cbranch_execz .LBB11_42
.LBB11_70:                              ;   in Loop: Header=BB11_9 Depth=1
	global_store_dword v[4:5], v48, off offset:24
	s_or_b64 exec, exec, s[12:13]
	v_cmp_gt_u32_e64 s[12:13], s30, v15
	s_and_saveexec_b64 s[14:15], s[12:13]
	s_cbranch_execz .LBB11_43
.LBB11_71:                              ;   in Loop: Header=BB11_9 Depth=1
	global_store_dword v[4:5], v49, off offset:28
	s_or_b64 exec, exec, s[14:15]
	v_cmp_gt_u32_e64 s[14:15], s30, v16
	s_and_saveexec_b64 s[16:17], s[14:15]
	s_cbranch_execz .LBB11_44
.LBB11_72:                              ;   in Loop: Header=BB11_9 Depth=1
	global_store_dword v[4:5], v50, off offset:32
	s_or_b64 exec, exec, s[16:17]
	v_cmp_gt_u32_e64 s[16:17], s30, v17
	s_and_saveexec_b64 s[18:19], s[16:17]
	s_cbranch_execz .LBB11_45
.LBB11_73:                              ;   in Loop: Header=BB11_9 Depth=1
	global_store_dword v[4:5], v51, off offset:36
	s_or_b64 exec, exec, s[18:19]
	v_cmp_gt_u32_e64 s[18:19], s30, v18
	s_and_saveexec_b64 s[20:21], s[18:19]
	s_cbranch_execz .LBB11_46
.LBB11_74:                              ;   in Loop: Header=BB11_9 Depth=1
	global_store_dword v[4:5], v52, off offset:40
	s_or_b64 exec, exec, s[20:21]
	v_cmp_gt_u32_e64 s[20:21], s30, v19
	s_and_saveexec_b64 s[22:23], s[20:21]
	s_cbranch_execz .LBB11_47
.LBB11_75:                              ;   in Loop: Header=BB11_9 Depth=1
	global_store_dword v[4:5], v53, off offset:44
	s_or_b64 exec, exec, s[22:23]
	v_cmp_gt_u32_e64 s[22:23], s30, v20
	s_and_saveexec_b64 s[24:25], s[22:23]
	s_cbranch_execz .LBB11_48
.LBB11_76:                              ;   in Loop: Header=BB11_9 Depth=1
	global_store_dword v[4:5], v54, off offset:48
	s_or_b64 exec, exec, s[24:25]
	v_cmp_gt_u32_e64 s[24:25], s30, v21
	s_and_saveexec_b64 s[30:31], s[24:25]
	s_cbranch_execnz .LBB11_49
	s_branch .LBB11_50
.LBB11_77:                              ;   in Loop: Header=BB11_9 Depth=1
	global_store_dword v[2:3], v29, off
	s_or_b64 exec, exec, s[26:27]
	s_and_saveexec_b64 s[26:27], s[0:1]
	s_cbranch_execz .LBB11_52
.LBB11_78:                              ;   in Loop: Header=BB11_9 Depth=1
	v_add_u32_e32 v4, 1, v28
	global_store_dword v[2:3], v4, off offset:4
	s_or_b64 exec, exec, s[26:27]
	s_and_saveexec_b64 s[0:1], s[2:3]
	s_cbranch_execz .LBB11_53
.LBB11_79:                              ;   in Loop: Header=BB11_9 Depth=1
	v_add_u32_e32 v4, 2, v30
	global_store_dword v[2:3], v4, off offset:8
	s_or_b64 exec, exec, s[0:1]
	s_and_saveexec_b64 s[0:1], s[4:5]
	s_cbranch_execz .LBB11_54
.LBB11_80:                              ;   in Loop: Header=BB11_9 Depth=1
	v_add_u32_e32 v4, 3, v31
	global_store_dword v[2:3], v4, off offset:12
	s_or_b64 exec, exec, s[0:1]
	s_and_saveexec_b64 s[0:1], s[6:7]
	s_cbranch_execz .LBB11_55
.LBB11_81:                              ;   in Loop: Header=BB11_9 Depth=1
	v_add_u32_e32 v4, 4, v32
	global_store_dword v[2:3], v4, off offset:16
	s_or_b64 exec, exec, s[0:1]
	s_and_saveexec_b64 s[0:1], s[8:9]
	s_cbranch_execz .LBB11_56
.LBB11_82:                              ;   in Loop: Header=BB11_9 Depth=1
	v_add_u32_e32 v4, 5, v33
	global_store_dword v[2:3], v4, off offset:20
	s_or_b64 exec, exec, s[0:1]
	s_and_saveexec_b64 s[0:1], s[10:11]
	s_cbranch_execz .LBB11_57
.LBB11_83:                              ;   in Loop: Header=BB11_9 Depth=1
	v_add_u32_e32 v4, 6, v34
	global_store_dword v[2:3], v4, off offset:24
	s_or_b64 exec, exec, s[0:1]
	s_and_saveexec_b64 s[0:1], s[12:13]
	s_cbranch_execz .LBB11_58
.LBB11_84:                              ;   in Loop: Header=BB11_9 Depth=1
	v_add_u32_e32 v4, 7, v35
	global_store_dword v[2:3], v4, off offset:28
	s_or_b64 exec, exec, s[0:1]
	s_and_saveexec_b64 s[0:1], s[14:15]
	s_cbranch_execz .LBB11_59
.LBB11_85:                              ;   in Loop: Header=BB11_9 Depth=1
	v_add_u32_e32 v4, 8, v38
	global_store_dword v[2:3], v4, off offset:32
	s_or_b64 exec, exec, s[0:1]
	s_and_saveexec_b64 s[0:1], s[16:17]
	s_cbranch_execz .LBB11_60
.LBB11_86:                              ;   in Loop: Header=BB11_9 Depth=1
	v_add_u32_e32 v4, 9, v40
	global_store_dword v[2:3], v4, off offset:36
	s_or_b64 exec, exec, s[0:1]
	s_and_saveexec_b64 s[0:1], s[18:19]
	s_cbranch_execz .LBB11_61
.LBB11_87:                              ;   in Loop: Header=BB11_9 Depth=1
	v_add_u32_e32 v4, 10, v42
	global_store_dword v[2:3], v4, off offset:40
	s_or_b64 exec, exec, s[0:1]
	s_and_saveexec_b64 s[0:1], s[20:21]
	s_cbranch_execz .LBB11_62
.LBB11_88:                              ;   in Loop: Header=BB11_9 Depth=1
	v_add_u32_e32 v4, 11, v44
	global_store_dword v[2:3], v4, off offset:44
	s_or_b64 exec, exec, s[0:1]
	s_and_saveexec_b64 s[0:1], s[22:23]
	s_cbranch_execz .LBB11_63
.LBB11_89:                              ;   in Loop: Header=BB11_9 Depth=1
	v_add_u32_e32 v4, 12, v46
	global_store_dword v[2:3], v4, off offset:48
	s_or_b64 exec, exec, s[0:1]
	s_and_saveexec_b64 s[0:1], s[24:25]
	s_cbranch_execz .LBB11_8
.LBB11_90:                              ;   in Loop: Header=BB11_9 Depth=1
	v_add_u32_e32 v4, 13, v47
	global_store_dword v[2:3], v4, off offset:52
	s_branch .LBB11_8
.LBB11_91:
	s_endpgm
	.section	.rodata,"a",@progbits
	.p2align	6, 0x0
	.amdhsa_kernel _Z30block_run_length_decode_kernelIiiLj256ELj1ELj14EEvPKT_PKT0_PS0_PS3_
		.amdhsa_group_segment_fixed_size 2048
		.amdhsa_private_segment_fixed_size 0
		.amdhsa_kernarg_size 32
		.amdhsa_user_sgpr_count 6
		.amdhsa_user_sgpr_private_segment_buffer 1
		.amdhsa_user_sgpr_dispatch_ptr 0
		.amdhsa_user_sgpr_queue_ptr 0
		.amdhsa_user_sgpr_kernarg_segment_ptr 1
		.amdhsa_user_sgpr_dispatch_id 0
		.amdhsa_user_sgpr_flat_scratch_init 0
		.amdhsa_user_sgpr_kernarg_preload_length 0
		.amdhsa_user_sgpr_kernarg_preload_offset 0
		.amdhsa_user_sgpr_private_segment_size 0
		.amdhsa_uses_dynamic_stack 0
		.amdhsa_system_sgpr_private_segment_wavefront_offset 0
		.amdhsa_system_sgpr_workgroup_id_x 1
		.amdhsa_system_sgpr_workgroup_id_y 0
		.amdhsa_system_sgpr_workgroup_id_z 0
		.amdhsa_system_sgpr_workgroup_info 0
		.amdhsa_system_vgpr_workitem_id 0
		.amdhsa_next_free_vgpr 55
		.amdhsa_next_free_sgpr 35
		.amdhsa_accum_offset 56
		.amdhsa_reserve_vcc 1
		.amdhsa_reserve_flat_scratch 0
		.amdhsa_float_round_mode_32 0
		.amdhsa_float_round_mode_16_64 0
		.amdhsa_float_denorm_mode_32 3
		.amdhsa_float_denorm_mode_16_64 3
		.amdhsa_dx10_clamp 1
		.amdhsa_ieee_mode 1
		.amdhsa_fp16_overflow 0
		.amdhsa_tg_split 0
		.amdhsa_exception_fp_ieee_invalid_op 0
		.amdhsa_exception_fp_denorm_src 0
		.amdhsa_exception_fp_ieee_div_zero 0
		.amdhsa_exception_fp_ieee_overflow 0
		.amdhsa_exception_fp_ieee_underflow 0
		.amdhsa_exception_fp_ieee_inexact 0
		.amdhsa_exception_int_div_zero 0
	.end_amdhsa_kernel
	.section	.text._Z30block_run_length_decode_kernelIiiLj256ELj1ELj14EEvPKT_PKT0_PS0_PS3_,"axG",@progbits,_Z30block_run_length_decode_kernelIiiLj256ELj1ELj14EEvPKT_PKT0_PS0_PS3_,comdat
.Lfunc_end11:
	.size	_Z30block_run_length_decode_kernelIiiLj256ELj1ELj14EEvPKT_PKT0_PS0_PS3_, .Lfunc_end11-_Z30block_run_length_decode_kernelIiiLj256ELj1ELj14EEvPKT_PKT0_PS0_PS3_
                                        ; -- End function
	.section	.AMDGPU.csdata,"",@progbits
; Kernel info:
; codeLenInByte = 3336
; NumSgprs: 39
; NumVgprs: 55
; NumAgprs: 0
; TotalNumVgprs: 55
; ScratchSize: 0
; MemoryBound: 0
; FloatMode: 240
; IeeeMode: 1
; LDSByteSize: 2048 bytes/workgroup (compile time only)
; SGPRBlocks: 4
; VGPRBlocks: 6
; NumSGPRsForWavesPerEU: 39
; NumVGPRsForWavesPerEU: 55
; AccumOffset: 56
; Occupancy: 8
; WaveLimiterHint : 0
; COMPUTE_PGM_RSRC2:SCRATCH_EN: 0
; COMPUTE_PGM_RSRC2:USER_SGPR: 6
; COMPUTE_PGM_RSRC2:TRAP_HANDLER: 0
; COMPUTE_PGM_RSRC2:TGID_X_EN: 1
; COMPUTE_PGM_RSRC2:TGID_Y_EN: 0
; COMPUTE_PGM_RSRC2:TGID_Z_EN: 0
; COMPUTE_PGM_RSRC2:TIDIG_COMP_CNT: 0
; COMPUTE_PGM_RSRC3_GFX90A:ACCUM_OFFSET: 13
; COMPUTE_PGM_RSRC3_GFX90A:TG_SPLIT: 0
	.section	.text._Z30block_run_length_decode_kernelI12hip_bfloat16iLj256ELj8ELj8EEvPKT_PKT0_PS1_PS4_,"axG",@progbits,_Z30block_run_length_decode_kernelI12hip_bfloat16iLj256ELj8ELj8EEvPKT_PKT0_PS1_PS4_,comdat
	.protected	_Z30block_run_length_decode_kernelI12hip_bfloat16iLj256ELj8ELj8EEvPKT_PKT0_PS1_PS4_ ; -- Begin function _Z30block_run_length_decode_kernelI12hip_bfloat16iLj256ELj8ELj8EEvPKT_PKT0_PS1_PS4_
	.globl	_Z30block_run_length_decode_kernelI12hip_bfloat16iLj256ELj8ELj8EEvPKT_PKT0_PS1_PS4_
	.p2align	8
	.type	_Z30block_run_length_decode_kernelI12hip_bfloat16iLj256ELj8ELj8EEvPKT_PKT0_PS1_PS4_,@function
_Z30block_run_length_decode_kernelI12hip_bfloat16iLj256ELj8ELj8EEvPKT_PKT0_PS1_PS4_: ; @_Z30block_run_length_decode_kernelI12hip_bfloat16iLj256ELj8ELj8EEvPKT_PKT0_PS1_PS4_
; %bb.0:
	s_load_dwordx8 s[8:15], s[4:5], 0x0
	v_lshlrev_b32_e32 v20, 3, v0
	v_lshl_or_b32 v14, s6, 11, v20
	v_mov_b32_e32 v15, 0
	v_lshlrev_b64 v[16:17], 2, v[14:15]
	s_waitcnt lgkmcnt(0)
	v_mov_b32_e32 v1, s11
	v_add_co_u32_e32 v2, vcc, s10, v16
	v_addc_co_u32_e32 v3, vcc, v1, v17, vcc
	global_load_dwordx4 v[10:13], v[2:3], off
	global_load_dwordx4 v[6:9], v[2:3], off offset:16
	v_lshlrev_b64 v[18:19], 1, v[14:15]
	v_mov_b32_e32 v1, s9
	v_add_co_u32_e32 v2, vcc, s8, v18
	v_addc_co_u32_e32 v3, vcc, v1, v19, vcc
	global_load_dwordx4 v[2:5], v[2:3], off
	v_mbcnt_lo_u32_b32 v1, -1, 0
	v_mbcnt_hi_u32_b32 v1, -1, v1
	v_and_b32_e32 v22, 15, v1
	v_cmp_ne_u32_e32 vcc, 0, v22
	v_bfe_i32 v23, v1, 4, 1
	v_or_b32_e32 v21, 63, v0
	v_lshrrev_b32_e32 v15, 6, v0
	s_waitcnt vmcnt(2)
	v_add_u32_e32 v24, v11, v10
	v_add3_u32 v24, v24, v12, v13
	s_waitcnt vmcnt(1)
	v_add3_u32 v24, v24, v6, v7
	v_add3_u32 v9, v24, v8, v9
	s_nop 1
	v_mov_b32_dpp v24, v9 row_shr:1 row_mask:0xf bank_mask:0xf
	v_cndmask_b32_e32 v24, 0, v24, vcc
	v_add_u32_e32 v9, v24, v9
	v_cmp_lt_u32_e32 vcc, 1, v22
	s_nop 0
	v_mov_b32_dpp v24, v9 row_shr:2 row_mask:0xf bank_mask:0xf
	v_cndmask_b32_e32 v24, 0, v24, vcc
	v_add_u32_e32 v9, v9, v24
	v_cmp_lt_u32_e32 vcc, 3, v22
	;; [unrolled: 5-line block ×4, first 2 shown]
	s_nop 0
	v_mov_b32_dpp v22, v9 row_bcast:15 row_mask:0xf bank_mask:0xf
	v_and_b32_e32 v22, v23, v22
	v_add_u32_e32 v9, v9, v22
	s_nop 1
	v_mov_b32_dpp v22, v9 row_bcast:31 row_mask:0xf bank_mask:0xf
	v_cndmask_b32_e32 v22, 0, v22, vcc
	v_add_u32_e32 v9, v9, v22
	v_cmp_eq_u32_e32 vcc, v21, v0
	s_and_saveexec_b64 s[0:1], vcc
	s_cbranch_execz .LBB12_2
; %bb.1:
	v_lshlrev_b32_e32 v21, 2, v15
	ds_write_b32 v21, v9
.LBB12_2:
	s_or_b64 exec, exec, s[0:1]
	v_cmp_gt_u32_e32 vcc, 4, v0
	s_waitcnt lgkmcnt(0)
	s_barrier
	s_and_saveexec_b64 s[0:1], vcc
	s_cbranch_execz .LBB12_4
; %bb.3:
	v_lshlrev_b32_e32 v21, 2, v0
	ds_read_b32 v22, v21
	v_and_b32_e32 v23, 3, v1
	v_cmp_ne_u32_e32 vcc, 0, v23
	s_waitcnt lgkmcnt(0)
	v_mov_b32_dpp v24, v22 row_shr:1 row_mask:0xf bank_mask:0xf
	v_cndmask_b32_e32 v24, 0, v24, vcc
	v_add_u32_e32 v22, v24, v22
	v_cmp_lt_u32_e32 vcc, 1, v23
	s_nop 0
	v_mov_b32_dpp v24, v22 row_shr:2 row_mask:0xf bank_mask:0xf
	v_cndmask_b32_e32 v23, 0, v24, vcc
	v_add_u32_e32 v22, v22, v23
	ds_write_b32 v21, v22
.LBB12_4:
	s_or_b64 exec, exec, s[0:1]
	v_cmp_lt_u32_e32 vcc, 63, v0
	v_mov_b32_e32 v21, 0
	v_mov_b32_e32 v22, 0
	s_waitcnt lgkmcnt(0)
	s_barrier
	s_and_saveexec_b64 s[0:1], vcc
	s_cbranch_execz .LBB12_6
; %bb.5:
	v_lshl_add_u32 v15, v15, 2, -4
	ds_read_b32 v22, v15
.LBB12_6:
	s_or_b64 exec, exec, s[0:1]
	v_add_u32_e32 v15, -1, v1
	v_and_b32_e32 v23, 64, v1
	v_cmp_lt_i32_e32 vcc, v15, v23
	v_cndmask_b32_e32 v15, v15, v1, vcc
	s_waitcnt lgkmcnt(0)
	v_add_u32_e32 v9, v22, v9
	v_lshlrev_b32_e32 v15, 2, v15
	ds_bpermute_b32 v9, v15, v9
	v_cmp_eq_u32_e32 vcc, 0, v1
	v_lshlrev_b32_e32 v15, 2, v20
	s_mov_b32 s16, 0
	s_waitcnt lgkmcnt(0)
	v_cndmask_b32_e32 v1, v9, v22, vcc
	v_cmp_ne_u32_e32 vcc, 0, v0
	v_cndmask_b32_e32 v0, 0, v1, vcc
	v_add_u32_e32 v1, v0, v10
	v_add_u32_e32 v9, v1, v11
	ds_read_b32 v11, v21 offset:12
	v_add_u32_e32 v10, v9, v12
	v_add_u32_e32 v12, v10, v13
	;; [unrolled: 1-line block ×4, first 2 shown]
	s_waitcnt lgkmcnt(0)
	s_barrier
	ds_write2_b32 v21, v0, v1 offset1:1
	v_add_u32_e32 v0, 0x1008, v15
	v_cmp_eq_u32_e32 vcc, 0, v11
	v_add_u32_e32 v7, v6, v7
	v_readfirstlane_b32 s17, v11
	v_lshlrev_b32_e32 v13, 1, v20
	ds_write2_b32 v0, v9, v10 offset1:1
	v_add_u32_e32 v0, 0x1010, v15
	s_and_b64 vcc, exec, vcc
	v_add_u32_e32 v8, v7, v8
	ds_write2_b32 v0, v12, v6 offset1:1
	v_add_u32_e32 v0, 0x1018, v15
	s_waitcnt vmcnt(0)
	ds_write_b128 v13, v[2:5]
	ds_write2_b32 v0, v7, v8 offset1:1
	s_waitcnt lgkmcnt(0)
	s_barrier
	s_cbranch_vccnz .LBB12_55
; %bb.7:
	v_mov_b32_e32 v0, 0
	ds_read_b32 v6, v0 offset:8192
	v_mov_b32_e32 v0, s15
	v_add_co_u32_e32 v1, vcc, s14, v16
	v_addc_co_u32_e32 v2, vcc, v17, v0, vcc
	v_add_co_u32_e32 v0, vcc, 28, v1
	v_addc_co_u32_e32 v1, vcc, 0, v2, vcc
	v_mov_b32_e32 v2, s13
	v_add_co_u32_e32 v3, vcc, s12, v18
	v_addc_co_u32_e32 v4, vcc, v19, v2, vcc
	v_add_co_u32_e32 v2, vcc, 14, v3
	v_or_b32_e32 v7, 1, v14
	v_or_b32_e32 v8, 2, v14
	;; [unrolled: 1-line block ×7, first 2 shown]
	v_addc_co_u32_e32 v3, vcc, 0, v4, vcc
	v_mov_b32_e32 v15, 0x401
	v_mov_b32_e32 v16, 0x800
	;; [unrolled: 1-line block ×6, first 2 shown]
	s_mov_b32 s18, s17
	s_branch .LBB12_9
.LBB12_8:                               ;   in Loop: Header=BB12_9 Depth=1
	s_or_b64 exec, exec, s[0:1]
	v_add_co_u32_e32 v0, vcc, 0x2000, v0
	v_addc_co_u32_e32 v1, vcc, 0, v1, vcc
	s_addk_i32 s16, 0x800
	s_addk_i32 s18, 0xf800
	v_add_co_u32_e32 v2, vcc, 0x1000, v2
	s_cmp_lt_u32 s16, s17
	v_addc_co_u32_e32 v3, vcc, 0, v3, vcc
	s_cbranch_scc0 .LBB12_55
.LBB12_9:                               ; =>This Inner Loop Header: Depth=1
	v_add_u32_e32 v22, s16, v20
	s_waitcnt lgkmcnt(0)
	v_cmp_gt_u32_e32 vcc, v6, v22
	v_cndmask_b32_e32 v5, v18, v19, vcc
	v_lshlrev_b32_e32 v23, 2, v5
	ds_read_b32 v23, v23 offset:4096
	v_cndmask_b32_e64 v4, v15, 0, vcc
	v_cndmask_b32_e32 v24, v16, v17, vcc
	v_or_b32_e32 v25, 1, v5
	s_waitcnt lgkmcnt(0)
	v_cmp_gt_u32_e32 vcc, v23, v22
	v_cndmask_b32_e32 v4, v25, v4, vcc
	v_cndmask_b32_e32 v5, v24, v5, vcc
	v_sub_u32_e32 v23, v5, v4
	v_lshrrev_b16_e32 v24, 15, v23
	v_add_u16_e32 v23, v23, v24
	v_ashrrev_i16_e32 v23, 1, v23
	v_add_u32_sdwa v23, v4, sext(v23) dst_sel:DWORD dst_unused:UNUSED_PAD src0_sel:DWORD src1_sel:WORD_0
	v_min_i32_e32 v23, 0x7ff, v23
	v_lshlrev_b32_e32 v24, 2, v23
	ds_read_b32 v24, v24 offset:4096
	v_add_u32_e32 v25, 1, v23
	s_waitcnt lgkmcnt(0)
	v_cmp_gt_u32_e32 vcc, v24, v22
	v_cndmask_b32_e32 v4, v25, v4, vcc
	v_cndmask_b32_e32 v5, v5, v23, vcc
	v_sub_u32_e32 v23, v5, v4
	v_lshrrev_b16_e32 v24, 15, v23
	v_add_u16_e32 v23, v23, v24
	v_ashrrev_i16_e32 v23, 1, v23
	v_add_u32_sdwa v23, v4, sext(v23) dst_sel:DWORD dst_unused:UNUSED_PAD src0_sel:DWORD src1_sel:WORD_0
	v_min_i32_e32 v23, 0x7ff, v23
	v_lshlrev_b32_e32 v24, 2, v23
	ds_read_b32 v24, v24 offset:4096
	v_add_u32_e32 v25, 1, v23
	;; [unrolled: 13-line block ×8, first 2 shown]
	s_waitcnt lgkmcnt(0)
	v_cmp_gt_u32_e32 vcc, v24, v22
	v_cndmask_b32_e32 v4, v25, v4, vcc
	v_cndmask_b32_e32 v5, v5, v23, vcc
	v_sub_u32_e32 v23, v5, v4
	v_lshrrev_b32_e32 v24, 31, v23
	v_add_u32_e32 v23, v23, v24
	v_ashrrev_i32_e32 v23, 1, v23
	v_add_u32_e32 v23, v23, v4
	v_min_i32_e32 v23, 0x7ff, v23
	v_lshlrev_b32_e32 v24, 2, v23
	ds_read_b32 v24, v24 offset:4096
	v_add_u32_e32 v25, 1, v23
	s_waitcnt lgkmcnt(0)
	v_cmp_gt_u32_e32 vcc, v24, v22
	v_cndmask_b32_e32 v4, v25, v4, vcc
	v_cndmask_b32_e32 v5, v5, v23, vcc
	v_sub_u32_e32 v5, v5, v4
	v_lshrrev_b32_e32 v23, 31, v5
	v_add_u32_e32 v5, v5, v23
	v_ashrrev_i32_e32 v5, 1, v5
	v_add_u32_e32 v5, v5, v4
	v_min_i32_e32 v5, 0x7ff, v5
	v_lshlrev_b32_e32 v23, 2, v5
	ds_read_b32 v23, v23 offset:4096
	v_add_u32_e32 v5, 1, v5
	v_add_u32_e32 v24, 1, v22
	s_waitcnt lgkmcnt(0)
	v_cmp_gt_u32_e32 vcc, v23, v22
	v_cndmask_b32_e32 v31, v5, v4, vcc
	v_lshlrev_b32_e32 v25, 2, v31
	v_add_u32_e32 v4, 0xffc, v25
	ds_read2_b32 v[4:5], v4 offset1:1
	v_lshl_add_u32 v23, v31, 1, -2
	ds_read_u16 v28, v23
	s_waitcnt lgkmcnt(1)
	v_sub_u32_e32 v23, v22, v4
	v_cmp_eq_u32_e32 vcc, v24, v5
	v_mov_b32_e32 v24, v23
	s_waitcnt lgkmcnt(0)
	v_mov_b32_e32 v29, v28
	s_and_saveexec_b64 s[0:1], vcc
	s_cbranch_execz .LBB12_11
; %bb.10:                               ;   in Loop: Header=BB12_9 Depth=1
	v_lshlrev_b32_e32 v4, 1, v31
	ds_read_b32 v25, v25 offset:4100
	ds_read_u16 v29, v4
	v_add_u32_e32 v31, 1, v31
	v_sub_u32_e32 v24, v22, v5
	s_waitcnt lgkmcnt(1)
	v_mov_b32_e32 v5, v25
.LBB12_11:                              ;   in Loop: Header=BB12_9 Depth=1
	s_or_b64 exec, exec, s[0:1]
	v_add_u32_e32 v4, 2, v22
	v_cmp_eq_u32_e32 vcc, v4, v5
	v_mov_b32_e32 v25, v24
	s_waitcnt lgkmcnt(0)
	v_mov_b32_e32 v32, v29
	s_and_saveexec_b64 s[0:1], vcc
	s_cbranch_execz .LBB12_13
; %bb.12:                               ;   in Loop: Header=BB12_9 Depth=1
	v_lshlrev_b32_e32 v4, 1, v31
	v_add_u32_e32 v31, 1, v31
	v_lshlrev_b32_e32 v25, 2, v31
	ds_read_b32 v26, v25 offset:4096
	ds_read_u16 v32, v4
	v_sub_u32_e32 v25, v22, v5
	s_waitcnt lgkmcnt(1)
	v_mov_b32_e32 v5, v26
.LBB12_13:                              ;   in Loop: Header=BB12_9 Depth=1
	s_or_b64 exec, exec, s[0:1]
	v_add_u32_e32 v4, 3, v22
	v_cmp_eq_u32_e32 vcc, v4, v5
	v_mov_b32_e32 v26, v25
	s_waitcnt lgkmcnt(0)
	v_mov_b32_e32 v33, v32
	s_and_saveexec_b64 s[0:1], vcc
	s_cbranch_execz .LBB12_15
; %bb.14:                               ;   in Loop: Header=BB12_9 Depth=1
	v_lshl_add_u32 v4, v31, 2, v21
	v_lshlrev_b32_e32 v26, 1, v31
	ds_read2_b32 v[4:5], v4 offset1:1
	ds_read_u16 v33, v26
	v_add_u32_e32 v31, 1, v31
	s_waitcnt lgkmcnt(1)
	v_sub_u32_e32 v26, v22, v4
.LBB12_15:                              ;   in Loop: Header=BB12_9 Depth=1
	s_or_b64 exec, exec, s[0:1]
	v_add_u32_e32 v4, 4, v22
	v_cmp_eq_u32_e32 vcc, v4, v5
	v_mov_b32_e32 v27, v26
	s_waitcnt lgkmcnt(0)
	v_mov_b32_e32 v34, v33
	s_and_saveexec_b64 s[0:1], vcc
	s_cbranch_execz .LBB12_17
; %bb.16:                               ;   in Loop: Header=BB12_9 Depth=1
	v_lshl_add_u32 v4, v31, 2, v21
	v_lshlrev_b32_e32 v27, 1, v31
	ds_read2_b32 v[4:5], v4 offset1:1
	ds_read_u16 v34, v27
	v_add_u32_e32 v31, 1, v31
	s_waitcnt lgkmcnt(1)
	v_sub_u32_e32 v27, v22, v4
.LBB12_17:                              ;   in Loop: Header=BB12_9 Depth=1
	;; [unrolled: 17-line block ×3, first 2 shown]
	s_or_b64 exec, exec, s[0:1]
	v_add_u32_e32 v4, 6, v22
	v_cmp_eq_u32_e32 vcc, v4, v5
	v_mov_b32_e32 v4, v30
	s_waitcnt lgkmcnt(0)
	v_mov_b32_e32 v36, v35
	s_and_saveexec_b64 s[0:1], vcc
	s_cbranch_execz .LBB12_21
; %bb.20:                               ;   in Loop: Header=BB12_9 Depth=1
	v_lshlrev_b32_e32 v36, 1, v31
	v_lshl_add_u32 v4, v31, 2, v21
	ds_read2_b32 v[4:5], v4 offset1:1
	ds_read_u16 v36, v36
	v_add_u32_e32 v31, 1, v31
	s_waitcnt lgkmcnt(1)
	v_sub_u32_e32 v4, v22, v4
.LBB12_21:                              ;   in Loop: Header=BB12_9 Depth=1
	s_or_b64 exec, exec, s[0:1]
	v_add_u32_e32 v37, 7, v22
	v_cmp_eq_u32_e32 vcc, v37, v5
	v_mov_b32_e32 v5, v4
	s_waitcnt lgkmcnt(0)
	v_mov_b32_e32 v37, v36
	s_and_saveexec_b64 s[0:1], vcc
	s_cbranch_execz .LBB12_23
; %bb.22:                               ;   in Loop: Header=BB12_9 Depth=1
	v_lshlrev_b32_e32 v5, 1, v31
	v_lshlrev_b32_e32 v31, 2, v31
	ds_read_b32 v31, v31 offset:4096
	ds_read_u16 v37, v5
	s_waitcnt lgkmcnt(1)
	v_sub_u32_e32 v5, v22, v31
.LBB12_23:                              ;   in Loop: Header=BB12_9 Depth=1
	s_or_b64 exec, exec, s[0:1]
	s_min_u32 s14, s18, 0x800
	v_cmp_gt_u32_e32 vcc, s14, v14
	s_and_saveexec_b64 s[0:1], vcc
	s_cbranch_execnz .LBB12_39
; %bb.24:                               ;   in Loop: Header=BB12_9 Depth=1
	s_or_b64 exec, exec, s[0:1]
	v_cmp_gt_u32_e64 s[0:1], s14, v7
	s_and_saveexec_b64 s[2:3], s[0:1]
	s_cbranch_execnz .LBB12_40
.LBB12_25:                              ;   in Loop: Header=BB12_9 Depth=1
	s_or_b64 exec, exec, s[2:3]
	v_cmp_gt_u32_e64 s[2:3], s14, v8
	s_and_saveexec_b64 s[4:5], s[2:3]
	s_cbranch_execnz .LBB12_41
.LBB12_26:                              ;   in Loop: Header=BB12_9 Depth=1
	s_or_b64 exec, exec, s[4:5]
	v_cmp_gt_u32_e64 s[4:5], s14, v9
	s_and_saveexec_b64 s[6:7], s[4:5]
	s_cbranch_execnz .LBB12_42
.LBB12_27:                              ;   in Loop: Header=BB12_9 Depth=1
	s_or_b64 exec, exec, s[6:7]
	v_cmp_gt_u32_e64 s[6:7], s14, v10
	s_and_saveexec_b64 s[8:9], s[6:7]
	s_cbranch_execnz .LBB12_43
.LBB12_28:                              ;   in Loop: Header=BB12_9 Depth=1
	s_or_b64 exec, exec, s[8:9]
	v_cmp_gt_u32_e64 s[8:9], s14, v11
	s_and_saveexec_b64 s[10:11], s[8:9]
	s_cbranch_execnz .LBB12_44
.LBB12_29:                              ;   in Loop: Header=BB12_9 Depth=1
	s_or_b64 exec, exec, s[10:11]
	v_cmp_gt_u32_e64 s[10:11], s14, v12
	s_and_saveexec_b64 s[12:13], s[10:11]
	s_cbranch_execnz .LBB12_45
.LBB12_30:                              ;   in Loop: Header=BB12_9 Depth=1
	s_or_b64 exec, exec, s[12:13]
	v_cmp_gt_u32_e64 s[12:13], s14, v13
	s_and_saveexec_b64 s[14:15], s[12:13]
	s_cbranch_execnz .LBB12_46
.LBB12_31:                              ;   in Loop: Header=BB12_9 Depth=1
	s_or_b64 exec, exec, s[14:15]
	s_and_saveexec_b64 s[14:15], vcc
	s_cbranch_execnz .LBB12_47
.LBB12_32:                              ;   in Loop: Header=BB12_9 Depth=1
	s_or_b64 exec, exec, s[14:15]
	s_and_saveexec_b64 s[14:15], s[0:1]
	s_cbranch_execnz .LBB12_48
.LBB12_33:                              ;   in Loop: Header=BB12_9 Depth=1
	s_or_b64 exec, exec, s[14:15]
	s_and_saveexec_b64 s[0:1], s[2:3]
	s_cbranch_execnz .LBB12_49
.LBB12_34:                              ;   in Loop: Header=BB12_9 Depth=1
	s_or_b64 exec, exec, s[0:1]
	s_and_saveexec_b64 s[0:1], s[4:5]
	s_cbranch_execnz .LBB12_50
.LBB12_35:                              ;   in Loop: Header=BB12_9 Depth=1
	s_or_b64 exec, exec, s[0:1]
	s_and_saveexec_b64 s[0:1], s[6:7]
	s_cbranch_execnz .LBB12_51
.LBB12_36:                              ;   in Loop: Header=BB12_9 Depth=1
	s_or_b64 exec, exec, s[0:1]
	s_and_saveexec_b64 s[0:1], s[8:9]
	s_cbranch_execnz .LBB12_52
.LBB12_37:                              ;   in Loop: Header=BB12_9 Depth=1
	s_or_b64 exec, exec, s[0:1]
	s_and_saveexec_b64 s[0:1], s[10:11]
	s_cbranch_execnz .LBB12_53
.LBB12_38:                              ;   in Loop: Header=BB12_9 Depth=1
	s_or_b64 exec, exec, s[0:1]
	s_and_saveexec_b64 s[0:1], s[12:13]
	s_cbranch_execz .LBB12_8
	s_branch .LBB12_54
.LBB12_39:                              ;   in Loop: Header=BB12_9 Depth=1
	global_store_short v[2:3], v28, off offset:-14
	s_or_b64 exec, exec, s[0:1]
	v_cmp_gt_u32_e64 s[0:1], s14, v7
	s_and_saveexec_b64 s[2:3], s[0:1]
	s_cbranch_execz .LBB12_25
.LBB12_40:                              ;   in Loop: Header=BB12_9 Depth=1
	global_store_short v[2:3], v29, off offset:-12
	s_or_b64 exec, exec, s[2:3]
	v_cmp_gt_u32_e64 s[2:3], s14, v8
	s_and_saveexec_b64 s[4:5], s[2:3]
	s_cbranch_execz .LBB12_26
.LBB12_41:                              ;   in Loop: Header=BB12_9 Depth=1
	global_store_short v[2:3], v32, off offset:-10
	s_or_b64 exec, exec, s[4:5]
	v_cmp_gt_u32_e64 s[4:5], s14, v9
	s_and_saveexec_b64 s[6:7], s[4:5]
	s_cbranch_execz .LBB12_27
.LBB12_42:                              ;   in Loop: Header=BB12_9 Depth=1
	global_store_short v[2:3], v33, off offset:-8
	s_or_b64 exec, exec, s[6:7]
	v_cmp_gt_u32_e64 s[6:7], s14, v10
	s_and_saveexec_b64 s[8:9], s[6:7]
	s_cbranch_execz .LBB12_28
.LBB12_43:                              ;   in Loop: Header=BB12_9 Depth=1
	global_store_short v[2:3], v34, off offset:-6
	s_or_b64 exec, exec, s[8:9]
	v_cmp_gt_u32_e64 s[8:9], s14, v11
	s_and_saveexec_b64 s[10:11], s[8:9]
	s_cbranch_execz .LBB12_29
.LBB12_44:                              ;   in Loop: Header=BB12_9 Depth=1
	global_store_short v[2:3], v35, off offset:-4
	s_or_b64 exec, exec, s[10:11]
	v_cmp_gt_u32_e64 s[10:11], s14, v12
	s_and_saveexec_b64 s[12:13], s[10:11]
	s_cbranch_execz .LBB12_30
.LBB12_45:                              ;   in Loop: Header=BB12_9 Depth=1
	global_store_short v[2:3], v36, off offset:-2
	s_or_b64 exec, exec, s[12:13]
	v_cmp_gt_u32_e64 s[12:13], s14, v13
	s_and_saveexec_b64 s[14:15], s[12:13]
	s_cbranch_execz .LBB12_31
.LBB12_46:                              ;   in Loop: Header=BB12_9 Depth=1
	s_waitcnt lgkmcnt(0)
	global_store_short v[2:3], v37, off
	s_or_b64 exec, exec, s[14:15]
	s_and_saveexec_b64 s[14:15], vcc
	s_cbranch_execz .LBB12_32
.LBB12_47:                              ;   in Loop: Header=BB12_9 Depth=1
	global_store_dword v[0:1], v23, off offset:-28
	s_or_b64 exec, exec, s[14:15]
	s_and_saveexec_b64 s[14:15], s[0:1]
	s_cbranch_execz .LBB12_33
.LBB12_48:                              ;   in Loop: Header=BB12_9 Depth=1
	v_add_u32_e32 v22, 1, v24
	global_store_dword v[0:1], v22, off offset:-24
	s_or_b64 exec, exec, s[14:15]
	s_and_saveexec_b64 s[0:1], s[2:3]
	s_cbranch_execz .LBB12_34
.LBB12_49:                              ;   in Loop: Header=BB12_9 Depth=1
	v_add_u32_e32 v22, 2, v25
	global_store_dword v[0:1], v22, off offset:-20
	s_or_b64 exec, exec, s[0:1]
	s_and_saveexec_b64 s[0:1], s[4:5]
	s_cbranch_execz .LBB12_35
.LBB12_50:                              ;   in Loop: Header=BB12_9 Depth=1
	v_add_u32_e32 v22, 3, v26
	global_store_dword v[0:1], v22, off offset:-16
	s_or_b64 exec, exec, s[0:1]
	s_and_saveexec_b64 s[0:1], s[6:7]
	s_cbranch_execz .LBB12_36
.LBB12_51:                              ;   in Loop: Header=BB12_9 Depth=1
	v_add_u32_e32 v22, 4, v27
	global_store_dword v[0:1], v22, off offset:-12
	s_or_b64 exec, exec, s[0:1]
	s_and_saveexec_b64 s[0:1], s[8:9]
	s_cbranch_execz .LBB12_37
.LBB12_52:                              ;   in Loop: Header=BB12_9 Depth=1
	v_add_u32_e32 v22, 5, v30
	global_store_dword v[0:1], v22, off offset:-8
	s_or_b64 exec, exec, s[0:1]
	s_and_saveexec_b64 s[0:1], s[10:11]
	s_cbranch_execz .LBB12_38
.LBB12_53:                              ;   in Loop: Header=BB12_9 Depth=1
	v_add_u32_e32 v4, 6, v4
	global_store_dword v[0:1], v4, off offset:-4
	s_or_b64 exec, exec, s[0:1]
	s_and_saveexec_b64 s[0:1], s[12:13]
	s_cbranch_execz .LBB12_8
.LBB12_54:                              ;   in Loop: Header=BB12_9 Depth=1
	v_add_u32_e32 v4, 7, v5
	global_store_dword v[0:1], v4, off
	s_branch .LBB12_8
.LBB12_55:
	s_endpgm
	.section	.rodata,"a",@progbits
	.p2align	6, 0x0
	.amdhsa_kernel _Z30block_run_length_decode_kernelI12hip_bfloat16iLj256ELj8ELj8EEvPKT_PKT0_PS1_PS4_
		.amdhsa_group_segment_fixed_size 12288
		.amdhsa_private_segment_fixed_size 0
		.amdhsa_kernarg_size 32
		.amdhsa_user_sgpr_count 6
		.amdhsa_user_sgpr_private_segment_buffer 1
		.amdhsa_user_sgpr_dispatch_ptr 0
		.amdhsa_user_sgpr_queue_ptr 0
		.amdhsa_user_sgpr_kernarg_segment_ptr 1
		.amdhsa_user_sgpr_dispatch_id 0
		.amdhsa_user_sgpr_flat_scratch_init 0
		.amdhsa_user_sgpr_kernarg_preload_length 0
		.amdhsa_user_sgpr_kernarg_preload_offset 0
		.amdhsa_user_sgpr_private_segment_size 0
		.amdhsa_uses_dynamic_stack 0
		.amdhsa_system_sgpr_private_segment_wavefront_offset 0
		.amdhsa_system_sgpr_workgroup_id_x 1
		.amdhsa_system_sgpr_workgroup_id_y 0
		.amdhsa_system_sgpr_workgroup_id_z 0
		.amdhsa_system_sgpr_workgroup_info 0
		.amdhsa_system_vgpr_workitem_id 0
		.amdhsa_next_free_vgpr 38
		.amdhsa_next_free_sgpr 19
		.amdhsa_accum_offset 40
		.amdhsa_reserve_vcc 1
		.amdhsa_reserve_flat_scratch 0
		.amdhsa_float_round_mode_32 0
		.amdhsa_float_round_mode_16_64 0
		.amdhsa_float_denorm_mode_32 3
		.amdhsa_float_denorm_mode_16_64 3
		.amdhsa_dx10_clamp 1
		.amdhsa_ieee_mode 1
		.amdhsa_fp16_overflow 0
		.amdhsa_tg_split 0
		.amdhsa_exception_fp_ieee_invalid_op 0
		.amdhsa_exception_fp_denorm_src 0
		.amdhsa_exception_fp_ieee_div_zero 0
		.amdhsa_exception_fp_ieee_overflow 0
		.amdhsa_exception_fp_ieee_underflow 0
		.amdhsa_exception_fp_ieee_inexact 0
		.amdhsa_exception_int_div_zero 0
	.end_amdhsa_kernel
	.section	.text._Z30block_run_length_decode_kernelI12hip_bfloat16iLj256ELj8ELj8EEvPKT_PKT0_PS1_PS4_,"axG",@progbits,_Z30block_run_length_decode_kernelI12hip_bfloat16iLj256ELj8ELj8EEvPKT_PKT0_PS1_PS4_,comdat
.Lfunc_end12:
	.size	_Z30block_run_length_decode_kernelI12hip_bfloat16iLj256ELj8ELj8EEvPKT_PKT0_PS1_PS4_, .Lfunc_end12-_Z30block_run_length_decode_kernelI12hip_bfloat16iLj256ELj8ELj8EEvPKT_PKT0_PS1_PS4_
                                        ; -- End function
	.section	.AMDGPU.csdata,"",@progbits
; Kernel info:
; codeLenInByte = 2756
; NumSgprs: 23
; NumVgprs: 38
; NumAgprs: 0
; TotalNumVgprs: 38
; ScratchSize: 0
; MemoryBound: 0
; FloatMode: 240
; IeeeMode: 1
; LDSByteSize: 12288 bytes/workgroup (compile time only)
; SGPRBlocks: 2
; VGPRBlocks: 4
; NumSGPRsForWavesPerEU: 23
; NumVGPRsForWavesPerEU: 38
; AccumOffset: 40
; Occupancy: 5
; WaveLimiterHint : 0
; COMPUTE_PGM_RSRC2:SCRATCH_EN: 0
; COMPUTE_PGM_RSRC2:USER_SGPR: 6
; COMPUTE_PGM_RSRC2:TRAP_HANDLER: 0
; COMPUTE_PGM_RSRC2:TGID_X_EN: 1
; COMPUTE_PGM_RSRC2:TGID_Y_EN: 0
; COMPUTE_PGM_RSRC2:TGID_Z_EN: 0
; COMPUTE_PGM_RSRC2:TIDIG_COMP_CNT: 0
; COMPUTE_PGM_RSRC3_GFX90A:ACCUM_OFFSET: 9
; COMPUTE_PGM_RSRC3_GFX90A:TG_SPLIT: 0
	.section	.text._Z30block_run_length_decode_kernelI6__halfiLj256ELj8ELj8EEvPKT_PKT0_PS1_PS4_,"axG",@progbits,_Z30block_run_length_decode_kernelI6__halfiLj256ELj8ELj8EEvPKT_PKT0_PS1_PS4_,comdat
	.protected	_Z30block_run_length_decode_kernelI6__halfiLj256ELj8ELj8EEvPKT_PKT0_PS1_PS4_ ; -- Begin function _Z30block_run_length_decode_kernelI6__halfiLj256ELj8ELj8EEvPKT_PKT0_PS1_PS4_
	.globl	_Z30block_run_length_decode_kernelI6__halfiLj256ELj8ELj8EEvPKT_PKT0_PS1_PS4_
	.p2align	8
	.type	_Z30block_run_length_decode_kernelI6__halfiLj256ELj8ELj8EEvPKT_PKT0_PS1_PS4_,@function
_Z30block_run_length_decode_kernelI6__halfiLj256ELj8ELj8EEvPKT_PKT0_PS1_PS4_: ; @_Z30block_run_length_decode_kernelI6__halfiLj256ELj8ELj8EEvPKT_PKT0_PS1_PS4_
; %bb.0:
	s_load_dwordx8 s[8:15], s[4:5], 0x0
	v_lshlrev_b32_e32 v20, 3, v0
	v_lshl_or_b32 v14, s6, 11, v20
	v_mov_b32_e32 v15, 0
	v_lshlrev_b64 v[16:17], 2, v[14:15]
	s_waitcnt lgkmcnt(0)
	v_mov_b32_e32 v1, s11
	v_add_co_u32_e32 v2, vcc, s10, v16
	v_addc_co_u32_e32 v3, vcc, v1, v17, vcc
	global_load_dwordx4 v[10:13], v[2:3], off
	global_load_dwordx4 v[6:9], v[2:3], off offset:16
	v_lshlrev_b64 v[18:19], 1, v[14:15]
	v_mov_b32_e32 v1, s9
	v_add_co_u32_e32 v2, vcc, s8, v18
	v_addc_co_u32_e32 v3, vcc, v1, v19, vcc
	global_load_dwordx4 v[2:5], v[2:3], off
	v_mbcnt_lo_u32_b32 v1, -1, 0
	v_mbcnt_hi_u32_b32 v1, -1, v1
	v_and_b32_e32 v22, 15, v1
	v_cmp_ne_u32_e32 vcc, 0, v22
	v_bfe_i32 v23, v1, 4, 1
	v_or_b32_e32 v21, 63, v0
	v_lshrrev_b32_e32 v15, 6, v0
	s_waitcnt vmcnt(2)
	v_add_u32_e32 v24, v11, v10
	v_add3_u32 v24, v24, v12, v13
	s_waitcnt vmcnt(1)
	v_add3_u32 v24, v24, v6, v7
	v_add3_u32 v9, v24, v8, v9
	s_nop 1
	v_mov_b32_dpp v24, v9 row_shr:1 row_mask:0xf bank_mask:0xf
	v_cndmask_b32_e32 v24, 0, v24, vcc
	v_add_u32_e32 v9, v24, v9
	v_cmp_lt_u32_e32 vcc, 1, v22
	s_nop 0
	v_mov_b32_dpp v24, v9 row_shr:2 row_mask:0xf bank_mask:0xf
	v_cndmask_b32_e32 v24, 0, v24, vcc
	v_add_u32_e32 v9, v9, v24
	v_cmp_lt_u32_e32 vcc, 3, v22
	;; [unrolled: 5-line block ×4, first 2 shown]
	s_nop 0
	v_mov_b32_dpp v22, v9 row_bcast:15 row_mask:0xf bank_mask:0xf
	v_and_b32_e32 v22, v23, v22
	v_add_u32_e32 v9, v9, v22
	s_nop 1
	v_mov_b32_dpp v22, v9 row_bcast:31 row_mask:0xf bank_mask:0xf
	v_cndmask_b32_e32 v22, 0, v22, vcc
	v_add_u32_e32 v9, v9, v22
	v_cmp_eq_u32_e32 vcc, v21, v0
	s_and_saveexec_b64 s[0:1], vcc
	s_cbranch_execz .LBB13_2
; %bb.1:
	v_lshlrev_b32_e32 v21, 2, v15
	ds_write_b32 v21, v9
.LBB13_2:
	s_or_b64 exec, exec, s[0:1]
	v_cmp_gt_u32_e32 vcc, 4, v0
	s_waitcnt lgkmcnt(0)
	s_barrier
	s_and_saveexec_b64 s[0:1], vcc
	s_cbranch_execz .LBB13_4
; %bb.3:
	v_lshlrev_b32_e32 v21, 2, v0
	ds_read_b32 v22, v21
	v_and_b32_e32 v23, 3, v1
	v_cmp_ne_u32_e32 vcc, 0, v23
	s_waitcnt lgkmcnt(0)
	v_mov_b32_dpp v24, v22 row_shr:1 row_mask:0xf bank_mask:0xf
	v_cndmask_b32_e32 v24, 0, v24, vcc
	v_add_u32_e32 v22, v24, v22
	v_cmp_lt_u32_e32 vcc, 1, v23
	s_nop 0
	v_mov_b32_dpp v24, v22 row_shr:2 row_mask:0xf bank_mask:0xf
	v_cndmask_b32_e32 v23, 0, v24, vcc
	v_add_u32_e32 v22, v22, v23
	ds_write_b32 v21, v22
.LBB13_4:
	s_or_b64 exec, exec, s[0:1]
	v_cmp_lt_u32_e32 vcc, 63, v0
	v_mov_b32_e32 v21, 0
	v_mov_b32_e32 v22, 0
	s_waitcnt lgkmcnt(0)
	s_barrier
	s_and_saveexec_b64 s[0:1], vcc
	s_cbranch_execz .LBB13_6
; %bb.5:
	v_lshl_add_u32 v15, v15, 2, -4
	ds_read_b32 v22, v15
.LBB13_6:
	s_or_b64 exec, exec, s[0:1]
	v_add_u32_e32 v15, -1, v1
	v_and_b32_e32 v23, 64, v1
	v_cmp_lt_i32_e32 vcc, v15, v23
	v_cndmask_b32_e32 v15, v15, v1, vcc
	s_waitcnt lgkmcnt(0)
	v_add_u32_e32 v9, v22, v9
	v_lshlrev_b32_e32 v15, 2, v15
	ds_bpermute_b32 v9, v15, v9
	v_cmp_eq_u32_e32 vcc, 0, v1
	v_lshlrev_b32_e32 v15, 2, v20
	s_mov_b32 s16, 0
	s_waitcnt lgkmcnt(0)
	v_cndmask_b32_e32 v1, v9, v22, vcc
	v_cmp_ne_u32_e32 vcc, 0, v0
	v_cndmask_b32_e32 v0, 0, v1, vcc
	v_add_u32_e32 v1, v0, v10
	v_add_u32_e32 v9, v1, v11
	ds_read_b32 v11, v21 offset:12
	v_add_u32_e32 v10, v9, v12
	v_add_u32_e32 v12, v10, v13
	;; [unrolled: 1-line block ×4, first 2 shown]
	s_waitcnt lgkmcnt(0)
	s_barrier
	ds_write2_b32 v21, v0, v1 offset1:1
	v_add_u32_e32 v0, 0x1008, v15
	v_cmp_eq_u32_e32 vcc, 0, v11
	v_add_u32_e32 v7, v6, v7
	v_readfirstlane_b32 s17, v11
	v_lshlrev_b32_e32 v13, 1, v20
	ds_write2_b32 v0, v9, v10 offset1:1
	v_add_u32_e32 v0, 0x1010, v15
	s_and_b64 vcc, exec, vcc
	v_add_u32_e32 v8, v7, v8
	ds_write2_b32 v0, v12, v6 offset1:1
	v_add_u32_e32 v0, 0x1018, v15
	s_waitcnt vmcnt(0)
	ds_write_b128 v13, v[2:5]
	ds_write2_b32 v0, v7, v8 offset1:1
	s_waitcnt lgkmcnt(0)
	s_barrier
	s_cbranch_vccnz .LBB13_55
; %bb.7:
	v_mov_b32_e32 v0, 0
	ds_read_b32 v6, v0 offset:8192
	v_mov_b32_e32 v0, s15
	v_add_co_u32_e32 v1, vcc, s14, v16
	v_addc_co_u32_e32 v2, vcc, v17, v0, vcc
	v_add_co_u32_e32 v0, vcc, 28, v1
	v_addc_co_u32_e32 v1, vcc, 0, v2, vcc
	v_mov_b32_e32 v2, s13
	v_add_co_u32_e32 v3, vcc, s12, v18
	v_addc_co_u32_e32 v4, vcc, v19, v2, vcc
	v_add_co_u32_e32 v2, vcc, 14, v3
	v_or_b32_e32 v7, 1, v14
	v_or_b32_e32 v8, 2, v14
	;; [unrolled: 1-line block ×7, first 2 shown]
	v_addc_co_u32_e32 v3, vcc, 0, v4, vcc
	v_mov_b32_e32 v15, 0x401
	v_mov_b32_e32 v16, 0x800
	;; [unrolled: 1-line block ×6, first 2 shown]
	s_mov_b32 s18, s17
	s_branch .LBB13_9
.LBB13_8:                               ;   in Loop: Header=BB13_9 Depth=1
	s_or_b64 exec, exec, s[0:1]
	v_add_co_u32_e32 v0, vcc, 0x2000, v0
	v_addc_co_u32_e32 v1, vcc, 0, v1, vcc
	s_addk_i32 s16, 0x800
	s_addk_i32 s18, 0xf800
	v_add_co_u32_e32 v2, vcc, 0x1000, v2
	s_cmp_lt_u32 s16, s17
	v_addc_co_u32_e32 v3, vcc, 0, v3, vcc
	s_cbranch_scc0 .LBB13_55
.LBB13_9:                               ; =>This Inner Loop Header: Depth=1
	v_add_u32_e32 v22, s16, v20
	s_waitcnt lgkmcnt(0)
	v_cmp_gt_u32_e32 vcc, v6, v22
	v_cndmask_b32_e32 v5, v18, v19, vcc
	v_lshlrev_b32_e32 v23, 2, v5
	ds_read_b32 v23, v23 offset:4096
	v_cndmask_b32_e64 v4, v15, 0, vcc
	v_cndmask_b32_e32 v24, v16, v17, vcc
	v_or_b32_e32 v25, 1, v5
	s_waitcnt lgkmcnt(0)
	v_cmp_gt_u32_e32 vcc, v23, v22
	v_cndmask_b32_e32 v4, v25, v4, vcc
	v_cndmask_b32_e32 v5, v24, v5, vcc
	v_sub_u32_e32 v23, v5, v4
	v_lshrrev_b16_e32 v24, 15, v23
	v_add_u16_e32 v23, v23, v24
	v_ashrrev_i16_e32 v23, 1, v23
	v_add_u32_sdwa v23, v4, sext(v23) dst_sel:DWORD dst_unused:UNUSED_PAD src0_sel:DWORD src1_sel:WORD_0
	v_min_i32_e32 v23, 0x7ff, v23
	v_lshlrev_b32_e32 v24, 2, v23
	ds_read_b32 v24, v24 offset:4096
	v_add_u32_e32 v25, 1, v23
	s_waitcnt lgkmcnt(0)
	v_cmp_gt_u32_e32 vcc, v24, v22
	v_cndmask_b32_e32 v4, v25, v4, vcc
	v_cndmask_b32_e32 v5, v5, v23, vcc
	v_sub_u32_e32 v23, v5, v4
	v_lshrrev_b16_e32 v24, 15, v23
	v_add_u16_e32 v23, v23, v24
	v_ashrrev_i16_e32 v23, 1, v23
	v_add_u32_sdwa v23, v4, sext(v23) dst_sel:DWORD dst_unused:UNUSED_PAD src0_sel:DWORD src1_sel:WORD_0
	v_min_i32_e32 v23, 0x7ff, v23
	v_lshlrev_b32_e32 v24, 2, v23
	ds_read_b32 v24, v24 offset:4096
	v_add_u32_e32 v25, 1, v23
	;; [unrolled: 13-line block ×8, first 2 shown]
	s_waitcnt lgkmcnt(0)
	v_cmp_gt_u32_e32 vcc, v24, v22
	v_cndmask_b32_e32 v4, v25, v4, vcc
	v_cndmask_b32_e32 v5, v5, v23, vcc
	v_sub_u32_e32 v23, v5, v4
	v_lshrrev_b32_e32 v24, 31, v23
	v_add_u32_e32 v23, v23, v24
	v_ashrrev_i32_e32 v23, 1, v23
	v_add_u32_e32 v23, v23, v4
	v_min_i32_e32 v23, 0x7ff, v23
	v_lshlrev_b32_e32 v24, 2, v23
	ds_read_b32 v24, v24 offset:4096
	v_add_u32_e32 v25, 1, v23
	s_waitcnt lgkmcnt(0)
	v_cmp_gt_u32_e32 vcc, v24, v22
	v_cndmask_b32_e32 v4, v25, v4, vcc
	v_cndmask_b32_e32 v5, v5, v23, vcc
	v_sub_u32_e32 v5, v5, v4
	v_lshrrev_b32_e32 v23, 31, v5
	v_add_u32_e32 v5, v5, v23
	v_ashrrev_i32_e32 v5, 1, v5
	v_add_u32_e32 v5, v5, v4
	v_min_i32_e32 v5, 0x7ff, v5
	v_lshlrev_b32_e32 v23, 2, v5
	ds_read_b32 v23, v23 offset:4096
	v_add_u32_e32 v5, 1, v5
	v_add_u32_e32 v24, 1, v22
	s_waitcnt lgkmcnt(0)
	v_cmp_gt_u32_e32 vcc, v23, v22
	v_cndmask_b32_e32 v32, v5, v4, vcc
	v_lshlrev_b32_e32 v25, 2, v32
	v_add_u32_e32 v4, 0xffc, v25
	ds_read2_b32 v[4:5], v4 offset1:1
	v_lshl_add_u32 v23, v32, 1, -2
	ds_read_u16 v28, v23
	s_waitcnt lgkmcnt(1)
	v_sub_u32_e32 v23, v22, v4
	v_cmp_eq_u32_e32 vcc, v24, v5
	v_mov_b32_e32 v24, v23
	s_waitcnt lgkmcnt(0)
	v_mov_b32_e32 v29, v28
	s_and_saveexec_b64 s[0:1], vcc
	s_cbranch_execz .LBB13_11
; %bb.10:                               ;   in Loop: Header=BB13_9 Depth=1
	v_lshlrev_b32_e32 v4, 1, v32
	ds_read_b32 v25, v25 offset:4100
	ds_read_u16 v29, v4
	v_add_u32_e32 v32, 1, v32
	v_sub_u32_e32 v24, v22, v5
	s_waitcnt lgkmcnt(1)
	v_mov_b32_e32 v5, v25
.LBB13_11:                              ;   in Loop: Header=BB13_9 Depth=1
	s_or_b64 exec, exec, s[0:1]
	v_add_u32_e32 v4, 2, v22
	v_cmp_eq_u32_e32 vcc, v4, v5
	v_mov_b32_e32 v25, v24
	s_waitcnt lgkmcnt(0)
	v_mov_b32_e32 v31, v29
	s_and_saveexec_b64 s[0:1], vcc
	s_cbranch_execz .LBB13_13
; %bb.12:                               ;   in Loop: Header=BB13_9 Depth=1
	v_add_u32_e32 v4, 1, v32
	v_lshlrev_b32_e32 v25, 2, v4
	v_lshlrev_b32_e32 v26, 1, v32
	ds_read_b32 v27, v25 offset:4096
	ds_read_u16 v31, v26
	v_sub_u32_e32 v25, v22, v5
	v_mov_b32_e32 v32, v4
	s_waitcnt lgkmcnt(1)
	v_mov_b32_e32 v5, v27
.LBB13_13:                              ;   in Loop: Header=BB13_9 Depth=1
	s_or_b64 exec, exec, s[0:1]
	v_add_u32_e32 v4, 3, v22
	v_cmp_eq_u32_e32 vcc, v4, v5
	v_mov_b32_e32 v26, v25
	s_waitcnt lgkmcnt(0)
	v_mov_b32_e32 v33, v31
	s_and_saveexec_b64 s[0:1], vcc
	s_cbranch_execz .LBB13_15
; %bb.14:                               ;   in Loop: Header=BB13_9 Depth=1
	v_lshl_add_u32 v4, v32, 2, v21
	ds_read2_b32 v[4:5], v4 offset1:1
	v_lshlrev_b32_e32 v26, 1, v32
	ds_read_u16 v33, v26
	v_add_u32_e32 v32, 1, v32
	s_waitcnt lgkmcnt(1)
	v_sub_u32_e32 v26, v22, v4
.LBB13_15:                              ;   in Loop: Header=BB13_9 Depth=1
	s_or_b64 exec, exec, s[0:1]
	v_add_u32_e32 v4, 4, v22
	v_cmp_eq_u32_e32 vcc, v4, v5
	v_mov_b32_e32 v27, v26
	s_waitcnt lgkmcnt(0)
	v_mov_b32_e32 v34, v33
	s_and_saveexec_b64 s[0:1], vcc
	s_cbranch_execz .LBB13_17
; %bb.16:                               ;   in Loop: Header=BB13_9 Depth=1
	v_lshl_add_u32 v4, v32, 2, v21
	ds_read2_b32 v[4:5], v4 offset1:1
	v_lshlrev_b32_e32 v27, 1, v32
	ds_read_u16 v34, v27
	v_add_u32_e32 v32, 1, v32
	s_waitcnt lgkmcnt(1)
	v_sub_u32_e32 v27, v22, v4
.LBB13_17:                              ;   in Loop: Header=BB13_9 Depth=1
	;; [unrolled: 17-line block ×4, first 2 shown]
	s_or_b64 exec, exec, s[0:1]
	v_add_u32_e32 v37, 7, v22
	v_cmp_eq_u32_e32 vcc, v37, v5
	v_mov_b32_e32 v5, v4
	s_waitcnt lgkmcnt(0)
	v_mov_b32_e32 v37, v36
	s_and_saveexec_b64 s[0:1], vcc
	s_cbranch_execz .LBB13_23
; %bb.22:                               ;   in Loop: Header=BB13_9 Depth=1
	v_lshlrev_b32_e32 v5, 2, v32
	v_lshlrev_b32_e32 v32, 1, v32
	ds_read_b32 v5, v5 offset:4096
	ds_read_u16 v37, v32
	s_waitcnt lgkmcnt(1)
	v_sub_u32_e32 v5, v22, v5
.LBB13_23:                              ;   in Loop: Header=BB13_9 Depth=1
	s_or_b64 exec, exec, s[0:1]
	s_min_u32 s14, s18, 0x800
	v_cmp_gt_u32_e32 vcc, s14, v14
	s_and_saveexec_b64 s[0:1], vcc
	s_cbranch_execnz .LBB13_39
; %bb.24:                               ;   in Loop: Header=BB13_9 Depth=1
	s_or_b64 exec, exec, s[0:1]
	v_cmp_gt_u32_e64 s[0:1], s14, v7
	s_and_saveexec_b64 s[2:3], s[0:1]
	s_cbranch_execnz .LBB13_40
.LBB13_25:                              ;   in Loop: Header=BB13_9 Depth=1
	s_or_b64 exec, exec, s[2:3]
	v_cmp_gt_u32_e64 s[2:3], s14, v8
	s_and_saveexec_b64 s[4:5], s[2:3]
	s_cbranch_execnz .LBB13_41
.LBB13_26:                              ;   in Loop: Header=BB13_9 Depth=1
	s_or_b64 exec, exec, s[4:5]
	v_cmp_gt_u32_e64 s[4:5], s14, v9
	s_and_saveexec_b64 s[6:7], s[4:5]
	s_cbranch_execnz .LBB13_42
.LBB13_27:                              ;   in Loop: Header=BB13_9 Depth=1
	s_or_b64 exec, exec, s[6:7]
	v_cmp_gt_u32_e64 s[6:7], s14, v10
	s_and_saveexec_b64 s[8:9], s[6:7]
	s_cbranch_execnz .LBB13_43
.LBB13_28:                              ;   in Loop: Header=BB13_9 Depth=1
	s_or_b64 exec, exec, s[8:9]
	v_cmp_gt_u32_e64 s[8:9], s14, v11
	s_and_saveexec_b64 s[10:11], s[8:9]
	s_cbranch_execnz .LBB13_44
.LBB13_29:                              ;   in Loop: Header=BB13_9 Depth=1
	s_or_b64 exec, exec, s[10:11]
	v_cmp_gt_u32_e64 s[10:11], s14, v12
	s_and_saveexec_b64 s[12:13], s[10:11]
	s_cbranch_execnz .LBB13_45
.LBB13_30:                              ;   in Loop: Header=BB13_9 Depth=1
	s_or_b64 exec, exec, s[12:13]
	v_cmp_gt_u32_e64 s[12:13], s14, v13
	s_and_saveexec_b64 s[14:15], s[12:13]
	s_cbranch_execnz .LBB13_46
.LBB13_31:                              ;   in Loop: Header=BB13_9 Depth=1
	s_or_b64 exec, exec, s[14:15]
	s_and_saveexec_b64 s[14:15], vcc
	s_cbranch_execnz .LBB13_47
.LBB13_32:                              ;   in Loop: Header=BB13_9 Depth=1
	s_or_b64 exec, exec, s[14:15]
	s_and_saveexec_b64 s[14:15], s[0:1]
	s_cbranch_execnz .LBB13_48
.LBB13_33:                              ;   in Loop: Header=BB13_9 Depth=1
	s_or_b64 exec, exec, s[14:15]
	s_and_saveexec_b64 s[0:1], s[2:3]
	s_cbranch_execnz .LBB13_49
.LBB13_34:                              ;   in Loop: Header=BB13_9 Depth=1
	s_or_b64 exec, exec, s[0:1]
	s_and_saveexec_b64 s[0:1], s[4:5]
	s_cbranch_execnz .LBB13_50
.LBB13_35:                              ;   in Loop: Header=BB13_9 Depth=1
	s_or_b64 exec, exec, s[0:1]
	s_and_saveexec_b64 s[0:1], s[6:7]
	s_cbranch_execnz .LBB13_51
.LBB13_36:                              ;   in Loop: Header=BB13_9 Depth=1
	s_or_b64 exec, exec, s[0:1]
	s_and_saveexec_b64 s[0:1], s[8:9]
	s_cbranch_execnz .LBB13_52
.LBB13_37:                              ;   in Loop: Header=BB13_9 Depth=1
	s_or_b64 exec, exec, s[0:1]
	s_and_saveexec_b64 s[0:1], s[10:11]
	s_cbranch_execnz .LBB13_53
.LBB13_38:                              ;   in Loop: Header=BB13_9 Depth=1
	s_or_b64 exec, exec, s[0:1]
	s_and_saveexec_b64 s[0:1], s[12:13]
	s_cbranch_execz .LBB13_8
	s_branch .LBB13_54
.LBB13_39:                              ;   in Loop: Header=BB13_9 Depth=1
	global_store_short v[2:3], v28, off offset:-14
	s_or_b64 exec, exec, s[0:1]
	v_cmp_gt_u32_e64 s[0:1], s14, v7
	s_and_saveexec_b64 s[2:3], s[0:1]
	s_cbranch_execz .LBB13_25
.LBB13_40:                              ;   in Loop: Header=BB13_9 Depth=1
	global_store_short v[2:3], v29, off offset:-12
	s_or_b64 exec, exec, s[2:3]
	v_cmp_gt_u32_e64 s[2:3], s14, v8
	s_and_saveexec_b64 s[4:5], s[2:3]
	s_cbranch_execz .LBB13_26
.LBB13_41:                              ;   in Loop: Header=BB13_9 Depth=1
	global_store_short v[2:3], v31, off offset:-10
	s_or_b64 exec, exec, s[4:5]
	v_cmp_gt_u32_e64 s[4:5], s14, v9
	s_and_saveexec_b64 s[6:7], s[4:5]
	s_cbranch_execz .LBB13_27
.LBB13_42:                              ;   in Loop: Header=BB13_9 Depth=1
	global_store_short v[2:3], v33, off offset:-8
	s_or_b64 exec, exec, s[6:7]
	v_cmp_gt_u32_e64 s[6:7], s14, v10
	s_and_saveexec_b64 s[8:9], s[6:7]
	s_cbranch_execz .LBB13_28
.LBB13_43:                              ;   in Loop: Header=BB13_9 Depth=1
	global_store_short v[2:3], v34, off offset:-6
	s_or_b64 exec, exec, s[8:9]
	v_cmp_gt_u32_e64 s[8:9], s14, v11
	s_and_saveexec_b64 s[10:11], s[8:9]
	s_cbranch_execz .LBB13_29
.LBB13_44:                              ;   in Loop: Header=BB13_9 Depth=1
	global_store_short v[2:3], v35, off offset:-4
	s_or_b64 exec, exec, s[10:11]
	v_cmp_gt_u32_e64 s[10:11], s14, v12
	s_and_saveexec_b64 s[12:13], s[10:11]
	s_cbranch_execz .LBB13_30
.LBB13_45:                              ;   in Loop: Header=BB13_9 Depth=1
	global_store_short v[2:3], v36, off offset:-2
	s_or_b64 exec, exec, s[12:13]
	v_cmp_gt_u32_e64 s[12:13], s14, v13
	s_and_saveexec_b64 s[14:15], s[12:13]
	s_cbranch_execz .LBB13_31
.LBB13_46:                              ;   in Loop: Header=BB13_9 Depth=1
	s_waitcnt lgkmcnt(0)
	global_store_short v[2:3], v37, off
	s_or_b64 exec, exec, s[14:15]
	s_and_saveexec_b64 s[14:15], vcc
	s_cbranch_execz .LBB13_32
.LBB13_47:                              ;   in Loop: Header=BB13_9 Depth=1
	global_store_dword v[0:1], v23, off offset:-28
	s_or_b64 exec, exec, s[14:15]
	s_and_saveexec_b64 s[14:15], s[0:1]
	s_cbranch_execz .LBB13_33
.LBB13_48:                              ;   in Loop: Header=BB13_9 Depth=1
	v_add_u32_e32 v22, 1, v24
	global_store_dword v[0:1], v22, off offset:-24
	s_or_b64 exec, exec, s[14:15]
	s_and_saveexec_b64 s[0:1], s[2:3]
	s_cbranch_execz .LBB13_34
.LBB13_49:                              ;   in Loop: Header=BB13_9 Depth=1
	v_add_u32_e32 v22, 2, v25
	global_store_dword v[0:1], v22, off offset:-20
	s_or_b64 exec, exec, s[0:1]
	s_and_saveexec_b64 s[0:1], s[4:5]
	s_cbranch_execz .LBB13_35
.LBB13_50:                              ;   in Loop: Header=BB13_9 Depth=1
	v_add_u32_e32 v22, 3, v26
	global_store_dword v[0:1], v22, off offset:-16
	s_or_b64 exec, exec, s[0:1]
	s_and_saveexec_b64 s[0:1], s[6:7]
	s_cbranch_execz .LBB13_36
.LBB13_51:                              ;   in Loop: Header=BB13_9 Depth=1
	v_add_u32_e32 v22, 4, v27
	global_store_dword v[0:1], v22, off offset:-12
	s_or_b64 exec, exec, s[0:1]
	s_and_saveexec_b64 s[0:1], s[8:9]
	s_cbranch_execz .LBB13_37
.LBB13_52:                              ;   in Loop: Header=BB13_9 Depth=1
	v_add_u32_e32 v22, 5, v30
	global_store_dword v[0:1], v22, off offset:-8
	s_or_b64 exec, exec, s[0:1]
	s_and_saveexec_b64 s[0:1], s[10:11]
	s_cbranch_execz .LBB13_38
.LBB13_53:                              ;   in Loop: Header=BB13_9 Depth=1
	v_add_u32_e32 v4, 6, v4
	global_store_dword v[0:1], v4, off offset:-4
	s_or_b64 exec, exec, s[0:1]
	s_and_saveexec_b64 s[0:1], s[12:13]
	s_cbranch_execz .LBB13_8
.LBB13_54:                              ;   in Loop: Header=BB13_9 Depth=1
	v_add_u32_e32 v4, 7, v5
	global_store_dword v[0:1], v4, off
	s_branch .LBB13_8
.LBB13_55:
	s_endpgm
	.section	.rodata,"a",@progbits
	.p2align	6, 0x0
	.amdhsa_kernel _Z30block_run_length_decode_kernelI6__halfiLj256ELj8ELj8EEvPKT_PKT0_PS1_PS4_
		.amdhsa_group_segment_fixed_size 12288
		.amdhsa_private_segment_fixed_size 0
		.amdhsa_kernarg_size 32
		.amdhsa_user_sgpr_count 6
		.amdhsa_user_sgpr_private_segment_buffer 1
		.amdhsa_user_sgpr_dispatch_ptr 0
		.amdhsa_user_sgpr_queue_ptr 0
		.amdhsa_user_sgpr_kernarg_segment_ptr 1
		.amdhsa_user_sgpr_dispatch_id 0
		.amdhsa_user_sgpr_flat_scratch_init 0
		.amdhsa_user_sgpr_kernarg_preload_length 0
		.amdhsa_user_sgpr_kernarg_preload_offset 0
		.amdhsa_user_sgpr_private_segment_size 0
		.amdhsa_uses_dynamic_stack 0
		.amdhsa_system_sgpr_private_segment_wavefront_offset 0
		.amdhsa_system_sgpr_workgroup_id_x 1
		.amdhsa_system_sgpr_workgroup_id_y 0
		.amdhsa_system_sgpr_workgroup_id_z 0
		.amdhsa_system_sgpr_workgroup_info 0
		.amdhsa_system_vgpr_workitem_id 0
		.amdhsa_next_free_vgpr 38
		.amdhsa_next_free_sgpr 19
		.amdhsa_accum_offset 40
		.amdhsa_reserve_vcc 1
		.amdhsa_reserve_flat_scratch 0
		.amdhsa_float_round_mode_32 0
		.amdhsa_float_round_mode_16_64 0
		.amdhsa_float_denorm_mode_32 3
		.amdhsa_float_denorm_mode_16_64 3
		.amdhsa_dx10_clamp 1
		.amdhsa_ieee_mode 1
		.amdhsa_fp16_overflow 0
		.amdhsa_tg_split 0
		.amdhsa_exception_fp_ieee_invalid_op 0
		.amdhsa_exception_fp_denorm_src 0
		.amdhsa_exception_fp_ieee_div_zero 0
		.amdhsa_exception_fp_ieee_overflow 0
		.amdhsa_exception_fp_ieee_underflow 0
		.amdhsa_exception_fp_ieee_inexact 0
		.amdhsa_exception_int_div_zero 0
	.end_amdhsa_kernel
	.section	.text._Z30block_run_length_decode_kernelI6__halfiLj256ELj8ELj8EEvPKT_PKT0_PS1_PS4_,"axG",@progbits,_Z30block_run_length_decode_kernelI6__halfiLj256ELj8ELj8EEvPKT_PKT0_PS1_PS4_,comdat
.Lfunc_end13:
	.size	_Z30block_run_length_decode_kernelI6__halfiLj256ELj8ELj8EEvPKT_PKT0_PS1_PS4_, .Lfunc_end13-_Z30block_run_length_decode_kernelI6__halfiLj256ELj8ELj8EEvPKT_PKT0_PS1_PS4_
                                        ; -- End function
	.section	.AMDGPU.csdata,"",@progbits
; Kernel info:
; codeLenInByte = 2760
; NumSgprs: 23
; NumVgprs: 38
; NumAgprs: 0
; TotalNumVgprs: 38
; ScratchSize: 0
; MemoryBound: 0
; FloatMode: 240
; IeeeMode: 1
; LDSByteSize: 12288 bytes/workgroup (compile time only)
; SGPRBlocks: 2
; VGPRBlocks: 4
; NumSGPRsForWavesPerEU: 23
; NumVGPRsForWavesPerEU: 38
; AccumOffset: 40
; Occupancy: 5
; WaveLimiterHint : 0
; COMPUTE_PGM_RSRC2:SCRATCH_EN: 0
; COMPUTE_PGM_RSRC2:USER_SGPR: 6
; COMPUTE_PGM_RSRC2:TRAP_HANDLER: 0
; COMPUTE_PGM_RSRC2:TGID_X_EN: 1
; COMPUTE_PGM_RSRC2:TGID_Y_EN: 0
; COMPUTE_PGM_RSRC2:TGID_Z_EN: 0
; COMPUTE_PGM_RSRC2:TIDIG_COMP_CNT: 0
; COMPUTE_PGM_RSRC3_GFX90A:ACCUM_OFFSET: 9
; COMPUTE_PGM_RSRC3_GFX90A:TG_SPLIT: 0
	.section	.text._Z30block_run_length_decode_kernelIfiLj256ELj8ELj8EEvPKT_PKT0_PS0_PS3_,"axG",@progbits,_Z30block_run_length_decode_kernelIfiLj256ELj8ELj8EEvPKT_PKT0_PS0_PS3_,comdat
	.protected	_Z30block_run_length_decode_kernelIfiLj256ELj8ELj8EEvPKT_PKT0_PS0_PS3_ ; -- Begin function _Z30block_run_length_decode_kernelIfiLj256ELj8ELj8EEvPKT_PKT0_PS0_PS3_
	.globl	_Z30block_run_length_decode_kernelIfiLj256ELj8ELj8EEvPKT_PKT0_PS0_PS3_
	.p2align	8
	.type	_Z30block_run_length_decode_kernelIfiLj256ELj8ELj8EEvPKT_PKT0_PS0_PS3_,@function
_Z30block_run_length_decode_kernelIfiLj256ELj8ELj8EEvPKT_PKT0_PS0_PS3_: ; @_Z30block_run_length_decode_kernelIfiLj256ELj8ELj8EEvPKT_PKT0_PS0_PS3_
; %bb.0:
	s_load_dwordx8 s[12:19], s[4:5], 0x0
	v_lshlrev_b32_e32 v22, 3, v0
	v_lshl_or_b32 v18, s6, 11, v22
	v_mov_b32_e32 v19, 0
	v_lshlrev_b64 v[20:21], 2, v[18:19]
	s_waitcnt lgkmcnt(0)
	v_mov_b32_e32 v1, s15
	v_add_co_u32_e32 v2, vcc, s14, v20
	v_addc_co_u32_e32 v3, vcc, v1, v21, vcc
	global_load_dwordx4 v[14:17], v[2:3], off
	global_load_dwordx4 v[10:13], v[2:3], off offset:16
	v_mov_b32_e32 v1, s13
	v_add_co_u32_e32 v24, vcc, s12, v20
	v_addc_co_u32_e32 v25, vcc, v1, v21, vcc
	global_load_dwordx4 v[2:5], v[24:25], off offset:16
	global_load_dwordx4 v[6:9], v[24:25], off
	v_mbcnt_lo_u32_b32 v1, -1, 0
	v_mbcnt_hi_u32_b32 v1, -1, v1
	v_and_b32_e32 v24, 15, v1
	v_cmp_ne_u32_e32 vcc, 0, v24
	v_bfe_i32 v25, v1, 4, 1
	v_or_b32_e32 v23, 63, v0
	v_lshrrev_b32_e32 v19, 6, v0
	s_waitcnt vmcnt(3)
	v_add_u32_e32 v26, v15, v14
	v_add3_u32 v26, v26, v16, v17
	s_waitcnt vmcnt(2)
	v_add3_u32 v26, v26, v10, v11
	v_add3_u32 v13, v26, v12, v13
	s_nop 1
	v_mov_b32_dpp v26, v13 row_shr:1 row_mask:0xf bank_mask:0xf
	v_cndmask_b32_e32 v26, 0, v26, vcc
	v_add_u32_e32 v13, v26, v13
	v_cmp_lt_u32_e32 vcc, 1, v24
	s_nop 0
	v_mov_b32_dpp v26, v13 row_shr:2 row_mask:0xf bank_mask:0xf
	v_cndmask_b32_e32 v26, 0, v26, vcc
	v_add_u32_e32 v13, v13, v26
	v_cmp_lt_u32_e32 vcc, 3, v24
	;; [unrolled: 5-line block ×4, first 2 shown]
	s_nop 0
	v_mov_b32_dpp v24, v13 row_bcast:15 row_mask:0xf bank_mask:0xf
	v_and_b32_e32 v24, v25, v24
	v_add_u32_e32 v13, v13, v24
	s_nop 1
	v_mov_b32_dpp v24, v13 row_bcast:31 row_mask:0xf bank_mask:0xf
	v_cndmask_b32_e32 v24, 0, v24, vcc
	v_add_u32_e32 v13, v13, v24
	v_cmp_eq_u32_e32 vcc, v23, v0
	s_and_saveexec_b64 s[0:1], vcc
	s_cbranch_execz .LBB14_2
; %bb.1:
	v_lshlrev_b32_e32 v23, 2, v19
	ds_write_b32 v23, v13
.LBB14_2:
	s_or_b64 exec, exec, s[0:1]
	v_cmp_gt_u32_e32 vcc, 4, v0
	s_waitcnt lgkmcnt(0)
	s_barrier
	s_and_saveexec_b64 s[0:1], vcc
	s_cbranch_execz .LBB14_4
; %bb.3:
	v_lshlrev_b32_e32 v23, 2, v0
	ds_read_b32 v24, v23
	v_and_b32_e32 v25, 3, v1
	v_cmp_ne_u32_e32 vcc, 0, v25
	s_waitcnt lgkmcnt(0)
	v_mov_b32_dpp v26, v24 row_shr:1 row_mask:0xf bank_mask:0xf
	v_cndmask_b32_e32 v26, 0, v26, vcc
	v_add_u32_e32 v24, v26, v24
	v_cmp_lt_u32_e32 vcc, 1, v25
	s_nop 0
	v_mov_b32_dpp v26, v24 row_shr:2 row_mask:0xf bank_mask:0xf
	v_cndmask_b32_e32 v25, 0, v26, vcc
	v_add_u32_e32 v24, v24, v25
	ds_write_b32 v23, v24
.LBB14_4:
	s_or_b64 exec, exec, s[0:1]
	v_cmp_lt_u32_e32 vcc, 63, v0
	v_mov_b32_e32 v23, 0
	v_mov_b32_e32 v24, 0
	s_waitcnt lgkmcnt(0)
	s_barrier
	s_and_saveexec_b64 s[0:1], vcc
	s_cbranch_execz .LBB14_6
; %bb.5:
	v_lshl_add_u32 v19, v19, 2, -4
	ds_read_b32 v24, v19
.LBB14_6:
	s_or_b64 exec, exec, s[0:1]
	v_add_u32_e32 v19, -1, v1
	v_and_b32_e32 v25, 64, v1
	v_cmp_lt_i32_e32 vcc, v19, v25
	v_cndmask_b32_e32 v19, v19, v1, vcc
	s_waitcnt lgkmcnt(0)
	v_add_u32_e32 v13, v24, v13
	v_lshlrev_b32_e32 v19, 2, v19
	ds_bpermute_b32 v13, v19, v13
	v_cmp_eq_u32_e32 vcc, 0, v1
	s_mov_b32 s20, 0
	s_waitcnt lgkmcnt(0)
	v_cndmask_b32_e32 v1, v13, v24, vcc
	v_cmp_ne_u32_e32 vcc, 0, v0
	v_cndmask_b32_e32 v0, 0, v1, vcc
	v_add_u32_e32 v1, v0, v14
	v_add_u32_e32 v13, v1, v15
	ds_read_b32 v15, v23 offset:12
	v_add_u32_e32 v14, v13, v16
	v_add_u32_e32 v16, v14, v17
	v_lshlrev_b32_e32 v17, 2, v22
	v_add_u32_e32 v10, v16, v10
	s_waitcnt lgkmcnt(0)
	s_barrier
	v_or_b32_e32 v19, 0x2000, v17
	s_waitcnt vmcnt(0)
	ds_write2_b32 v17, v6, v7 offset1:1
	ds_write2_b32 v19, v0, v1 offset1:1
	v_add_u32_e32 v0, 0x2008, v17
	v_cmp_eq_u32_e32 vcc, 0, v15
	v_add_u32_e32 v11, v10, v11
	v_readfirstlane_b32 s21, v15
	ds_write2_b32 v17, v8, v9 offset0:2 offset1:3
	ds_write2_b32 v0, v13, v14 offset1:1
	v_add_u32_e32 v0, 0x2010, v17
	s_and_b64 vcc, exec, vcc
	v_add_u32_e32 v12, v11, v12
	ds_write2_b32 v17, v2, v3 offset0:4 offset1:5
	ds_write2_b32 v0, v16, v10 offset1:1
	v_add_u32_e32 v0, 0x2018, v17
	ds_write2_b32 v17, v4, v5 offset0:6 offset1:7
	ds_write2_b32 v0, v11, v12 offset1:1
	s_waitcnt lgkmcnt(0)
	s_barrier
	s_cbranch_vccnz .LBB14_55
; %bb.7:
	v_mov_b32_e32 v0, 0
	ds_read_b32 v4, v0 offset:12288
	v_or_b32_e32 v5, 1, v18
	v_or_b32_e32 v6, 2, v18
	;; [unrolled: 1-line block ×7, first 2 shown]
	v_mov_b32_e32 v12, 0x401
	v_mov_b32_e32 v13, 0x800
	;; [unrolled: 1-line block ×5, first 2 shown]
	s_mov_b32 s22, s21
	s_branch .LBB14_9
.LBB14_8:                               ;   in Loop: Header=BB14_9 Depth=1
	s_or_b64 exec, exec, s[0:1]
	s_addk_i32 s20, 0x800
	s_addk_i32 s22, 0xf800
	s_add_u32 s18, s18, 0x2000
	s_addc_u32 s19, s19, 0
	s_add_u32 s16, s16, 0x2000
	s_addc_u32 s17, s17, 0
	s_cmp_lt_u32 s20, s21
	s_cbranch_scc0 .LBB14_55
.LBB14_9:                               ; =>This Inner Loop Header: Depth=1
	v_add_u32_e32 v2, s20, v22
	s_waitcnt lgkmcnt(0)
	v_cmp_gt_u32_e32 vcc, v4, v2
	v_cndmask_b32_e32 v1, v15, v16, vcc
	v_lshlrev_b32_e32 v3, 2, v1
	ds_read_b32 v3, v3 offset:8192
	v_cndmask_b32_e64 v0, v12, 0, vcc
	v_cndmask_b32_e32 v17, v13, v14, vcc
	v_or_b32_e32 v19, 1, v1
	s_waitcnt lgkmcnt(0)
	v_cmp_gt_u32_e32 vcc, v3, v2
	v_cndmask_b32_e32 v0, v19, v0, vcc
	v_cndmask_b32_e32 v1, v17, v1, vcc
	v_sub_u32_e32 v3, v1, v0
	v_lshrrev_b16_e32 v17, 15, v3
	v_add_u16_e32 v3, v3, v17
	v_ashrrev_i16_e32 v3, 1, v3
	v_add_u32_sdwa v3, v0, sext(v3) dst_sel:DWORD dst_unused:UNUSED_PAD src0_sel:DWORD src1_sel:WORD_0
	v_min_i32_e32 v3, 0x7ff, v3
	v_lshlrev_b32_e32 v17, 2, v3
	ds_read_b32 v17, v17 offset:8192
	v_add_u32_e32 v19, 1, v3
	s_waitcnt lgkmcnt(0)
	v_cmp_gt_u32_e32 vcc, v17, v2
	v_cndmask_b32_e32 v0, v19, v0, vcc
	v_cndmask_b32_e32 v1, v1, v3, vcc
	v_sub_u32_e32 v3, v1, v0
	v_lshrrev_b16_e32 v17, 15, v3
	v_add_u16_e32 v3, v3, v17
	v_ashrrev_i16_e32 v3, 1, v3
	v_add_u32_sdwa v3, v0, sext(v3) dst_sel:DWORD dst_unused:UNUSED_PAD src0_sel:DWORD src1_sel:WORD_0
	v_min_i32_e32 v3, 0x7ff, v3
	v_lshlrev_b32_e32 v17, 2, v3
	ds_read_b32 v17, v17 offset:8192
	v_add_u32_e32 v19, 1, v3
	;; [unrolled: 13-line block ×8, first 2 shown]
	s_waitcnt lgkmcnt(0)
	v_cmp_gt_u32_e32 vcc, v17, v2
	v_cndmask_b32_e32 v0, v19, v0, vcc
	v_cndmask_b32_e32 v1, v1, v3, vcc
	v_sub_u32_e32 v3, v1, v0
	v_lshrrev_b32_e32 v17, 31, v3
	v_add_u32_e32 v3, v3, v17
	v_ashrrev_i32_e32 v3, 1, v3
	v_add_u32_e32 v3, v3, v0
	v_min_i32_e32 v3, 0x7ff, v3
	v_lshlrev_b32_e32 v17, 2, v3
	ds_read_b32 v17, v17 offset:8192
	v_add_u32_e32 v19, 1, v3
	s_waitcnt lgkmcnt(0)
	v_cmp_gt_u32_e32 vcc, v17, v2
	v_cndmask_b32_e32 v0, v19, v0, vcc
	v_cndmask_b32_e32 v1, v1, v3, vcc
	v_sub_u32_e32 v1, v1, v0
	v_lshrrev_b32_e32 v3, 31, v1
	v_add_u32_e32 v1, v1, v3
	v_ashrrev_i32_e32 v1, 1, v1
	v_add_u32_e32 v1, v1, v0
	v_min_i32_e32 v1, 0x7ff, v1
	v_lshlrev_b32_e32 v3, 2, v1
	ds_read_b32 v3, v3 offset:8192
	v_add_u32_e32 v1, 1, v1
	s_waitcnt lgkmcnt(0)
	v_cmp_gt_u32_e32 vcc, v3, v2
	v_cndmask_b32_e32 v3, v1, v0, vcc
	v_lshlrev_b32_e32 v23, 2, v3
	v_add_u32_e32 v0, 0x1ffc, v23
	ds_read2_b32 v[0:1], v0 offset1:1
	v_add_u32_e32 v17, -4, v23
	ds_read_b32 v27, v17
	v_add_u32_e32 v17, 1, v2
	s_waitcnt lgkmcnt(1)
	v_sub_u32_e32 v19, v2, v0
	v_cmp_eq_u32_e32 vcc, v17, v1
	v_mov_b32_e32 v17, v19
	s_waitcnt lgkmcnt(0)
	v_mov_b32_e32 v28, v27
	s_and_saveexec_b64 s[0:1], vcc
	s_cbranch_execz .LBB14_11
; %bb.10:                               ;   in Loop: Header=BB14_9 Depth=1
	ds_read_b32 v0, v23 offset:8196
	ds_read_b32 v28, v23
	v_add_u32_e32 v3, 1, v3
	v_sub_u32_e32 v17, v2, v1
	s_waitcnt lgkmcnt(1)
	v_mov_b32_e32 v1, v0
.LBB14_11:                              ;   in Loop: Header=BB14_9 Depth=1
	s_or_b64 exec, exec, s[0:1]
	v_add_u32_e32 v0, 2, v2
	v_cmp_eq_u32_e32 vcc, v0, v1
	v_mov_b32_e32 v23, v17
	s_waitcnt lgkmcnt(0)
	v_mov_b32_e32 v30, v28
	s_and_saveexec_b64 s[0:1], vcc
	s_cbranch_execz .LBB14_13
; %bb.12:                               ;   in Loop: Header=BB14_9 Depth=1
	v_lshlrev_b32_e32 v0, 2, v3
	ds_read_b32 v24, v0 offset:8196
	ds_read_b32 v30, v0
	v_add_u32_e32 v3, 1, v3
	v_sub_u32_e32 v23, v2, v1
	s_waitcnt lgkmcnt(1)
	v_mov_b32_e32 v1, v24
.LBB14_13:                              ;   in Loop: Header=BB14_9 Depth=1
	s_or_b64 exec, exec, s[0:1]
	v_add_u32_e32 v0, 3, v2
	v_cmp_eq_u32_e32 vcc, v0, v1
	v_mov_b32_e32 v24, v23
	s_waitcnt lgkmcnt(0)
	v_mov_b32_e32 v32, v30
	s_and_saveexec_b64 s[0:1], vcc
	s_cbranch_execz .LBB14_15
; %bb.14:                               ;   in Loop: Header=BB14_9 Depth=1
	v_lshlrev_b32_e32 v24, 2, v3
	v_add_u32_e32 v0, 0x2000, v24
	ds_read2_b32 v[0:1], v0 offset1:1
	ds_read_b32 v32, v24
	v_add_u32_e32 v3, 1, v3
	s_waitcnt lgkmcnt(1)
	v_sub_u32_e32 v24, v2, v0
.LBB14_15:                              ;   in Loop: Header=BB14_9 Depth=1
	s_or_b64 exec, exec, s[0:1]
	v_add_u32_e32 v0, 4, v2
	v_cmp_eq_u32_e32 vcc, v0, v1
	v_mov_b32_e32 v25, v24
	s_waitcnt lgkmcnt(0)
	v_mov_b32_e32 v33, v32
	s_and_saveexec_b64 s[0:1], vcc
	s_cbranch_execz .LBB14_17
; %bb.16:                               ;   in Loop: Header=BB14_9 Depth=1
	v_lshlrev_b32_e32 v25, 2, v3
	v_add_u32_e32 v0, 0x2000, v25
	ds_read2_b32 v[0:1], v0 offset1:1
	ds_read_b32 v33, v25
	v_add_u32_e32 v3, 1, v3
	s_waitcnt lgkmcnt(1)
	v_sub_u32_e32 v25, v2, v0
.LBB14_17:                              ;   in Loop: Header=BB14_9 Depth=1
	;; [unrolled: 17-line block ×4, first 2 shown]
	s_or_b64 exec, exec, s[0:1]
	v_add_u32_e32 v0, 7, v2
	v_cmp_eq_u32_e32 vcc, v0, v1
	v_mov_b32_e32 v31, v29
	s_waitcnt lgkmcnt(0)
	v_mov_b32_e32 v0, v35
	s_and_saveexec_b64 s[0:1], vcc
	s_cbranch_execz .LBB14_23
; %bb.22:                               ;   in Loop: Header=BB14_9 Depth=1
	v_lshlrev_b32_e32 v0, 2, v3
	ds_read2st64_b32 v[0:1], v0 offset1:32
	s_waitcnt lgkmcnt(0)
	v_sub_u32_e32 v31, v2, v1
.LBB14_23:                              ;   in Loop: Header=BB14_9 Depth=1
	s_or_b64 exec, exec, s[0:1]
	v_mov_b32_e32 v1, s17
	v_add_co_u32_e32 v2, vcc, s16, v20
	s_min_u32 s14, s22, 0x800
	v_addc_co_u32_e32 v3, vcc, v1, v21, vcc
	v_cmp_gt_u32_e32 vcc, s14, v18
	s_and_saveexec_b64 s[0:1], vcc
	s_cbranch_execnz .LBB14_40
; %bb.24:                               ;   in Loop: Header=BB14_9 Depth=1
	s_or_b64 exec, exec, s[0:1]
	v_cmp_gt_u32_e64 s[0:1], s14, v5
	s_and_saveexec_b64 s[2:3], s[0:1]
	s_cbranch_execnz .LBB14_41
.LBB14_25:                              ;   in Loop: Header=BB14_9 Depth=1
	s_or_b64 exec, exec, s[2:3]
	v_cmp_gt_u32_e64 s[2:3], s14, v6
	s_and_saveexec_b64 s[4:5], s[2:3]
	s_cbranch_execnz .LBB14_42
.LBB14_26:                              ;   in Loop: Header=BB14_9 Depth=1
	s_or_b64 exec, exec, s[4:5]
	v_cmp_gt_u32_e64 s[4:5], s14, v7
	s_and_saveexec_b64 s[6:7], s[4:5]
	s_cbranch_execnz .LBB14_43
.LBB14_27:                              ;   in Loop: Header=BB14_9 Depth=1
	s_or_b64 exec, exec, s[6:7]
	v_cmp_gt_u32_e64 s[6:7], s14, v8
	s_and_saveexec_b64 s[8:9], s[6:7]
	s_cbranch_execnz .LBB14_44
.LBB14_28:                              ;   in Loop: Header=BB14_9 Depth=1
	s_or_b64 exec, exec, s[8:9]
	v_cmp_gt_u32_e64 s[8:9], s14, v9
	s_and_saveexec_b64 s[10:11], s[8:9]
	s_cbranch_execnz .LBB14_45
.LBB14_29:                              ;   in Loop: Header=BB14_9 Depth=1
	s_or_b64 exec, exec, s[10:11]
	v_cmp_gt_u32_e64 s[10:11], s14, v10
	s_and_saveexec_b64 s[12:13], s[10:11]
	s_cbranch_execnz .LBB14_46
.LBB14_30:                              ;   in Loop: Header=BB14_9 Depth=1
	s_or_b64 exec, exec, s[12:13]
	v_cmp_gt_u32_e64 s[12:13], s14, v11
	s_and_saveexec_b64 s[14:15], s[12:13]
	s_cbranch_execz .LBB14_32
.LBB14_31:                              ;   in Loop: Header=BB14_9 Depth=1
	global_store_dword v[2:3], v0, off offset:28
.LBB14_32:                              ;   in Loop: Header=BB14_9 Depth=1
	s_or_b64 exec, exec, s[14:15]
	v_mov_b32_e32 v1, s19
	v_add_co_u32_e64 v0, s[14:15], s18, v20
	v_addc_co_u32_e64 v1, s[14:15], v1, v21, s[14:15]
	s_and_saveexec_b64 s[14:15], vcc
	s_cbranch_execnz .LBB14_47
; %bb.33:                               ;   in Loop: Header=BB14_9 Depth=1
	s_or_b64 exec, exec, s[14:15]
	s_and_saveexec_b64 s[14:15], s[0:1]
	s_cbranch_execnz .LBB14_48
.LBB14_34:                              ;   in Loop: Header=BB14_9 Depth=1
	s_or_b64 exec, exec, s[14:15]
	s_and_saveexec_b64 s[0:1], s[2:3]
	s_cbranch_execnz .LBB14_49
.LBB14_35:                              ;   in Loop: Header=BB14_9 Depth=1
	s_or_b64 exec, exec, s[0:1]
	s_and_saveexec_b64 s[0:1], s[4:5]
	s_cbranch_execnz .LBB14_50
.LBB14_36:                              ;   in Loop: Header=BB14_9 Depth=1
	s_or_b64 exec, exec, s[0:1]
	s_and_saveexec_b64 s[0:1], s[6:7]
	s_cbranch_execnz .LBB14_51
.LBB14_37:                              ;   in Loop: Header=BB14_9 Depth=1
	s_or_b64 exec, exec, s[0:1]
	s_and_saveexec_b64 s[0:1], s[8:9]
	s_cbranch_execnz .LBB14_52
.LBB14_38:                              ;   in Loop: Header=BB14_9 Depth=1
	s_or_b64 exec, exec, s[0:1]
	s_and_saveexec_b64 s[0:1], s[10:11]
	s_cbranch_execnz .LBB14_53
.LBB14_39:                              ;   in Loop: Header=BB14_9 Depth=1
	s_or_b64 exec, exec, s[0:1]
	s_and_saveexec_b64 s[0:1], s[12:13]
	s_cbranch_execz .LBB14_8
	s_branch .LBB14_54
.LBB14_40:                              ;   in Loop: Header=BB14_9 Depth=1
	global_store_dword v[2:3], v27, off
	s_or_b64 exec, exec, s[0:1]
	v_cmp_gt_u32_e64 s[0:1], s14, v5
	s_and_saveexec_b64 s[2:3], s[0:1]
	s_cbranch_execz .LBB14_25
.LBB14_41:                              ;   in Loop: Header=BB14_9 Depth=1
	global_store_dword v[2:3], v28, off offset:4
	s_or_b64 exec, exec, s[2:3]
	v_cmp_gt_u32_e64 s[2:3], s14, v6
	s_and_saveexec_b64 s[4:5], s[2:3]
	s_cbranch_execz .LBB14_26
.LBB14_42:                              ;   in Loop: Header=BB14_9 Depth=1
	global_store_dword v[2:3], v30, off offset:8
	s_or_b64 exec, exec, s[4:5]
	v_cmp_gt_u32_e64 s[4:5], s14, v7
	s_and_saveexec_b64 s[6:7], s[4:5]
	s_cbranch_execz .LBB14_27
.LBB14_43:                              ;   in Loop: Header=BB14_9 Depth=1
	global_store_dword v[2:3], v32, off offset:12
	s_or_b64 exec, exec, s[6:7]
	v_cmp_gt_u32_e64 s[6:7], s14, v8
	s_and_saveexec_b64 s[8:9], s[6:7]
	s_cbranch_execz .LBB14_28
.LBB14_44:                              ;   in Loop: Header=BB14_9 Depth=1
	global_store_dword v[2:3], v33, off offset:16
	s_or_b64 exec, exec, s[8:9]
	v_cmp_gt_u32_e64 s[8:9], s14, v9
	s_and_saveexec_b64 s[10:11], s[8:9]
	s_cbranch_execz .LBB14_29
.LBB14_45:                              ;   in Loop: Header=BB14_9 Depth=1
	global_store_dword v[2:3], v34, off offset:20
	s_or_b64 exec, exec, s[10:11]
	v_cmp_gt_u32_e64 s[10:11], s14, v10
	s_and_saveexec_b64 s[12:13], s[10:11]
	s_cbranch_execz .LBB14_30
.LBB14_46:                              ;   in Loop: Header=BB14_9 Depth=1
	global_store_dword v[2:3], v35, off offset:24
	s_or_b64 exec, exec, s[12:13]
	v_cmp_gt_u32_e64 s[12:13], s14, v11
	s_and_saveexec_b64 s[14:15], s[12:13]
	s_cbranch_execnz .LBB14_31
	s_branch .LBB14_32
.LBB14_47:                              ;   in Loop: Header=BB14_9 Depth=1
	global_store_dword v[0:1], v19, off
	s_or_b64 exec, exec, s[14:15]
	s_and_saveexec_b64 s[14:15], s[0:1]
	s_cbranch_execz .LBB14_34
.LBB14_48:                              ;   in Loop: Header=BB14_9 Depth=1
	v_add_u32_e32 v2, 1, v17
	global_store_dword v[0:1], v2, off offset:4
	s_or_b64 exec, exec, s[14:15]
	s_and_saveexec_b64 s[0:1], s[2:3]
	s_cbranch_execz .LBB14_35
.LBB14_49:                              ;   in Loop: Header=BB14_9 Depth=1
	v_add_u32_e32 v2, 2, v23
	global_store_dword v[0:1], v2, off offset:8
	s_or_b64 exec, exec, s[0:1]
	s_and_saveexec_b64 s[0:1], s[4:5]
	s_cbranch_execz .LBB14_36
.LBB14_50:                              ;   in Loop: Header=BB14_9 Depth=1
	v_add_u32_e32 v2, 3, v24
	global_store_dword v[0:1], v2, off offset:12
	s_or_b64 exec, exec, s[0:1]
	s_and_saveexec_b64 s[0:1], s[6:7]
	s_cbranch_execz .LBB14_37
.LBB14_51:                              ;   in Loop: Header=BB14_9 Depth=1
	v_add_u32_e32 v2, 4, v25
	global_store_dword v[0:1], v2, off offset:16
	s_or_b64 exec, exec, s[0:1]
	s_and_saveexec_b64 s[0:1], s[8:9]
	s_cbranch_execz .LBB14_38
.LBB14_52:                              ;   in Loop: Header=BB14_9 Depth=1
	v_add_u32_e32 v2, 5, v26
	global_store_dword v[0:1], v2, off offset:20
	s_or_b64 exec, exec, s[0:1]
	s_and_saveexec_b64 s[0:1], s[10:11]
	s_cbranch_execz .LBB14_39
.LBB14_53:                              ;   in Loop: Header=BB14_9 Depth=1
	v_add_u32_e32 v2, 6, v29
	global_store_dword v[0:1], v2, off offset:24
	s_or_b64 exec, exec, s[0:1]
	s_and_saveexec_b64 s[0:1], s[12:13]
	s_cbranch_execz .LBB14_8
.LBB14_54:                              ;   in Loop: Header=BB14_9 Depth=1
	v_add_u32_e32 v2, 7, v31
	global_store_dword v[0:1], v2, off offset:28
	s_branch .LBB14_8
.LBB14_55:
	s_endpgm
	.section	.rodata,"a",@progbits
	.p2align	6, 0x0
	.amdhsa_kernel _Z30block_run_length_decode_kernelIfiLj256ELj8ELj8EEvPKT_PKT0_PS0_PS3_
		.amdhsa_group_segment_fixed_size 16384
		.amdhsa_private_segment_fixed_size 0
		.amdhsa_kernarg_size 32
		.amdhsa_user_sgpr_count 6
		.amdhsa_user_sgpr_private_segment_buffer 1
		.amdhsa_user_sgpr_dispatch_ptr 0
		.amdhsa_user_sgpr_queue_ptr 0
		.amdhsa_user_sgpr_kernarg_segment_ptr 1
		.amdhsa_user_sgpr_dispatch_id 0
		.amdhsa_user_sgpr_flat_scratch_init 0
		.amdhsa_user_sgpr_kernarg_preload_length 0
		.amdhsa_user_sgpr_kernarg_preload_offset 0
		.amdhsa_user_sgpr_private_segment_size 0
		.amdhsa_uses_dynamic_stack 0
		.amdhsa_system_sgpr_private_segment_wavefront_offset 0
		.amdhsa_system_sgpr_workgroup_id_x 1
		.amdhsa_system_sgpr_workgroup_id_y 0
		.amdhsa_system_sgpr_workgroup_id_z 0
		.amdhsa_system_sgpr_workgroup_info 0
		.amdhsa_system_vgpr_workitem_id 0
		.amdhsa_next_free_vgpr 36
		.amdhsa_next_free_sgpr 23
		.amdhsa_accum_offset 36
		.amdhsa_reserve_vcc 1
		.amdhsa_reserve_flat_scratch 0
		.amdhsa_float_round_mode_32 0
		.amdhsa_float_round_mode_16_64 0
		.amdhsa_float_denorm_mode_32 3
		.amdhsa_float_denorm_mode_16_64 3
		.amdhsa_dx10_clamp 1
		.amdhsa_ieee_mode 1
		.amdhsa_fp16_overflow 0
		.amdhsa_tg_split 0
		.amdhsa_exception_fp_ieee_invalid_op 0
		.amdhsa_exception_fp_denorm_src 0
		.amdhsa_exception_fp_ieee_div_zero 0
		.amdhsa_exception_fp_ieee_overflow 0
		.amdhsa_exception_fp_ieee_underflow 0
		.amdhsa_exception_fp_ieee_inexact 0
		.amdhsa_exception_int_div_zero 0
	.end_amdhsa_kernel
	.section	.text._Z30block_run_length_decode_kernelIfiLj256ELj8ELj8EEvPKT_PKT0_PS0_PS3_,"axG",@progbits,_Z30block_run_length_decode_kernelIfiLj256ELj8ELj8EEvPKT_PKT0_PS0_PS3_,comdat
.Lfunc_end14:
	.size	_Z30block_run_length_decode_kernelIfiLj256ELj8ELj8EEvPKT_PKT0_PS0_PS3_, .Lfunc_end14-_Z30block_run_length_decode_kernelIfiLj256ELj8ELj8EEvPKT_PKT0_PS0_PS3_
                                        ; -- End function
	.section	.AMDGPU.csdata,"",@progbits
; Kernel info:
; codeLenInByte = 2724
; NumSgprs: 27
; NumVgprs: 36
; NumAgprs: 0
; TotalNumVgprs: 36
; ScratchSize: 0
; MemoryBound: 0
; FloatMode: 240
; IeeeMode: 1
; LDSByteSize: 16384 bytes/workgroup (compile time only)
; SGPRBlocks: 3
; VGPRBlocks: 4
; NumSGPRsForWavesPerEU: 27
; NumVGPRsForWavesPerEU: 36
; AccumOffset: 36
; Occupancy: 4
; WaveLimiterHint : 0
; COMPUTE_PGM_RSRC2:SCRATCH_EN: 0
; COMPUTE_PGM_RSRC2:USER_SGPR: 6
; COMPUTE_PGM_RSRC2:TRAP_HANDLER: 0
; COMPUTE_PGM_RSRC2:TGID_X_EN: 1
; COMPUTE_PGM_RSRC2:TGID_Y_EN: 0
; COMPUTE_PGM_RSRC2:TGID_Z_EN: 0
; COMPUTE_PGM_RSRC2:TIDIG_COMP_CNT: 0
; COMPUTE_PGM_RSRC3_GFX90A:ACCUM_OFFSET: 8
; COMPUTE_PGM_RSRC3_GFX90A:TG_SPLIT: 0
	.section	.text._Z30block_run_length_decode_kernelIcxLj256ELj8ELj8EEvPKT_PKT0_PS0_PS3_,"axG",@progbits,_Z30block_run_length_decode_kernelIcxLj256ELj8ELj8EEvPKT_PKT0_PS0_PS3_,comdat
	.protected	_Z30block_run_length_decode_kernelIcxLj256ELj8ELj8EEvPKT_PKT0_PS0_PS3_ ; -- Begin function _Z30block_run_length_decode_kernelIcxLj256ELj8ELj8EEvPKT_PKT0_PS0_PS3_
	.globl	_Z30block_run_length_decode_kernelIcxLj256ELj8ELj8EEvPKT_PKT0_PS0_PS3_
	.p2align	8
	.type	_Z30block_run_length_decode_kernelIcxLj256ELj8ELj8EEvPKT_PKT0_PS0_PS3_,@function
_Z30block_run_length_decode_kernelIcxLj256ELj8ELj8EEvPKT_PKT0_PS0_PS3_: ; @_Z30block_run_length_decode_kernelIcxLj256ELj8ELj8EEvPKT_PKT0_PS0_PS3_
; %bb.0:
	s_load_dwordx8 s[8:15], s[4:5], 0x0
	v_lshlrev_b32_e32 v18, 3, v0
	v_lshl_or_b32 v20, s6, 11, v18
	v_mov_b32_e32 v21, 0
	v_lshlrev_b64 v[22:23], 3, v[20:21]
	s_waitcnt lgkmcnt(0)
	v_mov_b32_e32 v1, s11
	v_add_co_u32_e32 v26, vcc, s10, v22
	v_addc_co_u32_e32 v27, vcc, v1, v23, vcc
	global_load_dwordx4 v[14:17], v[26:27], off
	global_load_dwordx4 v[10:13], v[26:27], off offset:16
	global_load_dwordx4 v[6:9], v[26:27], off offset:32
	;; [unrolled: 1-line block ×3, first 2 shown]
	global_load_dwordx2 v[24:25], v20, s[8:9]
	v_mbcnt_lo_u32_b32 v1, -1, 0
	v_mbcnt_hi_u32_b32 v1, -1, v1
	s_waitcnt vmcnt(2)
	v_and_b32_e32 v7, 15, v1
	v_cmp_ne_u32_e32 vcc, 0, v7
	v_bfe_i32 v9, v1, 4, 1
	s_waitcnt vmcnt(1)
	v_or_b32_e32 v5, 63, v0
	v_lshrrev_b32_e32 v3, 6, v0
	v_add_u32_e32 v11, v16, v14
	v_add3_u32 v11, v11, v10, v12
	v_add3_u32 v11, v11, v6, v8
	;; [unrolled: 1-line block ×3, first 2 shown]
	s_nop 1
	v_mov_b32_dpp v11, v4 row_shr:1 row_mask:0xf bank_mask:0xf
	v_cndmask_b32_e32 v11, 0, v11, vcc
	v_add_u32_e32 v4, v11, v4
	v_cmp_lt_u32_e32 vcc, 1, v7
	s_nop 0
	v_mov_b32_dpp v11, v4 row_shr:2 row_mask:0xf bank_mask:0xf
	v_cndmask_b32_e32 v11, 0, v11, vcc
	v_add_u32_e32 v4, v4, v11
	v_cmp_lt_u32_e32 vcc, 3, v7
	;; [unrolled: 5-line block ×4, first 2 shown]
	s_nop 0
	v_mov_b32_dpp v7, v4 row_bcast:15 row_mask:0xf bank_mask:0xf
	v_and_b32_e32 v7, v9, v7
	v_add_u32_e32 v4, v4, v7
	s_nop 1
	v_mov_b32_dpp v7, v4 row_bcast:31 row_mask:0xf bank_mask:0xf
	v_cndmask_b32_e32 v7, 0, v7, vcc
	v_add_u32_e32 v4, v4, v7
	v_cmp_eq_u32_e32 vcc, v5, v0
	s_and_saveexec_b64 s[0:1], vcc
	s_cbranch_execz .LBB15_2
; %bb.1:
	v_lshlrev_b32_e32 v5, 2, v3
	ds_write_b32 v5, v4
.LBB15_2:
	s_or_b64 exec, exec, s[0:1]
	v_cmp_gt_u32_e32 vcc, 4, v0
	s_waitcnt lgkmcnt(0)
	s_barrier
	s_and_saveexec_b64 s[0:1], vcc
	s_cbranch_execz .LBB15_4
; %bb.3:
	v_lshlrev_b32_e32 v5, 2, v0
	ds_read_b32 v7, v5
	v_and_b32_e32 v9, 3, v1
	v_cmp_ne_u32_e32 vcc, 0, v9
	s_waitcnt lgkmcnt(0)
	v_mov_b32_dpp v11, v7 row_shr:1 row_mask:0xf bank_mask:0xf
	v_cndmask_b32_e32 v11, 0, v11, vcc
	v_add_u32_e32 v7, v11, v7
	v_cmp_lt_u32_e32 vcc, 1, v9
	s_nop 0
	v_mov_b32_dpp v11, v7 row_shr:2 row_mask:0xf bank_mask:0xf
	v_cndmask_b32_e32 v9, 0, v11, vcc
	v_add_u32_e32 v7, v7, v9
	ds_write_b32 v5, v7
.LBB15_4:
	s_or_b64 exec, exec, s[0:1]
	v_cmp_lt_u32_e32 vcc, 63, v0
	v_mov_b32_e32 v5, 0
	v_mov_b32_e32 v7, 0
	s_waitcnt lgkmcnt(0)
	s_barrier
	s_and_saveexec_b64 s[0:1], vcc
	s_cbranch_execz .LBB15_6
; %bb.5:
	v_lshl_add_u32 v3, v3, 2, -4
	ds_read_b32 v7, v3
.LBB15_6:
	s_or_b64 exec, exec, s[0:1]
	s_waitcnt lgkmcnt(0)
	v_add_u32_e32 v3, v7, v4
	v_add_u32_e32 v4, -1, v1
	v_and_b32_e32 v9, 64, v1
	v_cmp_lt_i32_e32 vcc, v4, v9
	v_cndmask_b32_e32 v4, v4, v1, vcc
	v_lshlrev_b32_e32 v4, 2, v4
	ds_bpermute_b32 v3, v4, v3
	v_cmp_eq_u32_e32 vcc, 0, v1
	ds_read_b32 v5, v5 offset:12
	v_lshlrev_b32_e32 v9, 2, v18
	s_waitcnt lgkmcnt(0)
	v_cndmask_b32_e32 v1, v3, v7, vcc
	v_cmp_ne_u32_e32 vcc, 0, v0
	v_cndmask_b32_e32 v0, 0, v1, vcc
	v_add_u32_e32 v1, v0, v14
	v_add_u32_e32 v3, v1, v16
	;; [unrolled: 1-line block ×6, first 2 shown]
	s_barrier
	ds_write2_b32 v10, v0, v1 offset1:1
	v_add_u32_e32 v0, 0x808, v9
	v_cmp_eq_u32_e32 vcc, 0, v5
	v_add_u32_e32 v8, v6, v8
	v_readfirstlane_b32 s18, v5
	ds_write2_b32 v0, v3, v4 offset1:1
	v_add_u32_e32 v0, 0x810, v9
	s_and_b64 vcc, exec, vcc
	v_add_u32_e32 v2, v8, v2
	ds_write2_b32 v0, v7, v6 offset1:1
	v_add_u32_e32 v0, 0x818, v9
	s_waitcnt vmcnt(0)
	ds_write_b64 v18, v[24:25]
	ds_write2_b32 v0, v8, v2 offset1:1
	s_waitcnt lgkmcnt(0)
	s_barrier
	s_cbranch_vccnz .LBB15_55
; %bb.7:
	v_mov_b32_e32 v0, s13
	v_add_co_u32_e32 v19, vcc, s12, v20
	v_mov_b32_e32 v1, 0
	v_addc_co_u32_e32 v21, vcc, 0, v0, vcc
	ds_read_b32 v24, v1 offset:6144
	v_mov_b32_e32 v0, s15
	v_add_co_u32_e32 v2, vcc, s14, v22
	v_addc_co_u32_e32 v0, vcc, v23, v0, vcc
	v_add_co_u32_e32 v2, vcc, 56, v2
	v_or_b32_e32 v25, 1, v20
	v_or_b32_e32 v26, 2, v20
	;; [unrolled: 1-line block ×7, first 2 shown]
	v_addc_co_u32_e32 v3, vcc, 0, v0, vcc
	s_mov_b64 s[14:15], 0
	v_mov_b32_e32 v32, 0x401
	v_mov_b32_e32 v33, 0x800
	;; [unrolled: 1-line block ×5, first 2 shown]
	s_mov_b32 s19, s18
	s_branch .LBB15_9
.LBB15_8:                               ;   in Loop: Header=BB15_9 Depth=1
	s_or_b64 exec, exec, s[0:1]
	s_add_u32 s14, s14, 0x800
	s_addc_u32 s15, s15, 0
	s_addk_i32 s19, 0xf800
	v_add_co_u32_e32 v2, vcc, 0x4000, v2
	s_cmp_lt_u32 s14, s18
	v_addc_co_u32_e32 v3, vcc, 0, v3, vcc
	s_cbranch_scc0 .LBB15_55
.LBB15_9:                               ; =>This Inner Loop Header: Depth=1
	v_add_co_u32_e32 v22, vcc, s14, v18
	s_waitcnt lgkmcnt(0)
	v_cmp_gt_u32_e32 vcc, v24, v22
	v_cndmask_b32_e32 v4, v35, v36, vcc
	v_lshlrev_b32_e32 v5, 2, v4
	ds_read_b32 v5, v5 offset:2048
	v_cndmask_b32_e64 v0, v32, 0, vcc
	v_cndmask_b32_e32 v6, v33, v34, vcc
	v_or_b32_e32 v7, 1, v4
	s_waitcnt lgkmcnt(0)
	v_cmp_gt_u32_e32 vcc, v5, v22
	v_cndmask_b32_e32 v0, v7, v0, vcc
	v_cndmask_b32_e32 v4, v6, v4, vcc
	v_sub_u32_e32 v5, v4, v0
	v_lshrrev_b16_e32 v6, 15, v5
	v_add_u16_e32 v5, v5, v6
	v_ashrrev_i16_e32 v5, 1, v5
	v_add_u32_sdwa v5, v0, sext(v5) dst_sel:DWORD dst_unused:UNUSED_PAD src0_sel:DWORD src1_sel:WORD_0
	v_min_i32_e32 v5, 0x7ff, v5
	v_lshlrev_b32_e32 v6, 2, v5
	ds_read_b32 v6, v6 offset:2048
	v_add_u32_e32 v7, 1, v5
	s_waitcnt lgkmcnt(0)
	v_cmp_gt_u32_e32 vcc, v6, v22
	v_cndmask_b32_e32 v0, v7, v0, vcc
	v_cndmask_b32_e32 v4, v4, v5, vcc
	v_sub_u32_e32 v5, v4, v0
	v_lshrrev_b16_e32 v6, 15, v5
	v_add_u16_e32 v5, v5, v6
	v_ashrrev_i16_e32 v5, 1, v5
	v_add_u32_sdwa v5, v0, sext(v5) dst_sel:DWORD dst_unused:UNUSED_PAD src0_sel:DWORD src1_sel:WORD_0
	v_min_i32_e32 v5, 0x7ff, v5
	v_lshlrev_b32_e32 v6, 2, v5
	ds_read_b32 v6, v6 offset:2048
	v_add_u32_e32 v7, 1, v5
	;; [unrolled: 13-line block ×8, first 2 shown]
	s_waitcnt lgkmcnt(0)
	v_cmp_gt_u32_e32 vcc, v6, v22
	v_cndmask_b32_e32 v0, v7, v0, vcc
	v_cndmask_b32_e32 v4, v4, v5, vcc
	v_sub_u32_e32 v5, v4, v0
	v_lshrrev_b32_e32 v6, 31, v5
	v_add_u32_e32 v5, v5, v6
	v_ashrrev_i32_e32 v5, 1, v5
	v_add_u32_e32 v5, v5, v0
	v_min_i32_e32 v5, 0x7ff, v5
	v_lshlrev_b32_e32 v6, 2, v5
	ds_read_b32 v6, v6 offset:2048
	v_add_u32_e32 v7, 1, v5
	s_waitcnt lgkmcnt(0)
	v_cmp_gt_u32_e32 vcc, v6, v22
	v_cndmask_b32_e32 v0, v7, v0, vcc
	v_cndmask_b32_e32 v4, v4, v5, vcc
	v_sub_u32_e32 v4, v4, v0
	v_lshrrev_b32_e32 v5, 31, v4
	v_add_u32_e32 v4, v4, v5
	v_ashrrev_i32_e32 v4, 1, v4
	v_add_u32_e32 v4, v4, v0
	v_min_i32_e32 v4, 0x7ff, v4
	v_lshlrev_b32_e32 v5, 2, v4
	ds_read_b32 v5, v5 offset:2048
	v_add_u32_e32 v4, 1, v4
	s_waitcnt lgkmcnt(0)
	v_cmp_gt_u32_e32 vcc, v5, v22
	v_cndmask_b32_e32 v23, v4, v0, vcc
	v_lshlrev_b32_e32 v6, 2, v23
	v_add_u32_e32 v0, 0x7fc, v6
	ds_read2_b32 v[16:17], v0 offset1:1
	v_add_u32_e32 v4, -1, v23
	ds_read_u8 v38, v4
	v_add_u32_e32 v0, 1, v22
	s_waitcnt lgkmcnt(1)
	v_sub_u32_e32 v4, 0, v16
	v_cmp_eq_u32_e32 vcc, v0, v17
	v_add_co_u32_e64 v0, s[0:1], v22, v4
	v_pk_mov_b32 v[4:5], v[0:1], v[0:1] op_sel:[0,1]
	s_waitcnt lgkmcnt(0)
	v_mov_b32_e32 v37, v38
	s_and_saveexec_b64 s[0:1], vcc
	s_cbranch_execz .LBB15_11
; %bb.10:                               ;   in Loop: Header=BB15_9 Depth=1
	ds_read_u8 v37, v23
	ds_read_b32 v6, v6 offset:2052
	v_add_u32_e32 v5, 1, v23
	v_sub_u32_e32 v4, 0, v17
	v_add_co_u32_e32 v4, vcc, v22, v4
	v_mov_b32_e32 v23, v5
	s_waitcnt lgkmcnt(0)
	v_mov_b32_e32 v17, v6
.LBB15_11:                              ;   in Loop: Header=BB15_9 Depth=1
	s_or_b64 exec, exec, s[0:1]
	v_add_u32_e32 v6, 2, v22
	v_cmp_eq_u32_e32 vcc, v6, v17
	v_pk_mov_b32 v[6:7], v[4:5], v[4:5] op_sel:[0,1]
	v_mov_b32_e32 v5, v37
	s_and_saveexec_b64 s[0:1], vcc
	s_cbranch_execz .LBB15_13
; %bb.12:                               ;   in Loop: Header=BB15_9 Depth=1
	v_add_u32_e32 v7, 1, v23
	v_lshlrev_b32_e32 v6, 2, v7
	ds_read_u8 v5, v23
	ds_read_b32 v8, v6 offset:2048
	v_sub_u32_e32 v6, 0, v17
	v_add_co_u32_e32 v6, vcc, v22, v6
	v_mov_b32_e32 v23, v7
	s_waitcnt lgkmcnt(0)
	v_mov_b32_e32 v17, v8
.LBB15_13:                              ;   in Loop: Header=BB15_9 Depth=1
	s_or_b64 exec, exec, s[0:1]
	v_add_u32_e32 v8, 3, v22
	v_cmp_eq_u32_e32 vcc, v8, v17
	v_pk_mov_b32 v[8:9], v[6:7], v[6:7] op_sel:[0,1]
	v_mov_b32_e32 v7, v5
	s_and_saveexec_b64 s[0:1], vcc
	s_cbranch_execz .LBB15_15
; %bb.14:                               ;   in Loop: Header=BB15_9 Depth=1
	v_lshl_add_u32 v7, v23, 2, v33
	ds_read2_b32 v[16:17], v7 offset1:1
	ds_read_u8 v7, v23
	v_add_u32_e32 v23, 1, v23
	s_waitcnt lgkmcnt(1)
	v_sub_u32_e32 v8, 0, v16
	v_add_co_u32_e32 v8, vcc, v22, v8
.LBB15_15:                              ;   in Loop: Header=BB15_9 Depth=1
	s_or_b64 exec, exec, s[0:1]
	v_add_u32_e32 v10, 4, v22
	v_cmp_eq_u32_e32 vcc, v10, v17
	v_pk_mov_b32 v[10:11], v[8:9], v[8:9] op_sel:[0,1]
	s_waitcnt lgkmcnt(0)
	v_mov_b32_e32 v9, v7
	s_and_saveexec_b64 s[0:1], vcc
	s_cbranch_execz .LBB15_17
; %bb.16:                               ;   in Loop: Header=BB15_9 Depth=1
	v_lshl_add_u32 v9, v23, 2, v33
	ds_read2_b32 v[16:17], v9 offset1:1
	ds_read_u8 v9, v23
	v_add_u32_e32 v23, 1, v23
	s_waitcnt lgkmcnt(1)
	v_sub_u32_e32 v10, 0, v16
	v_add_co_u32_e32 v10, vcc, v22, v10
.LBB15_17:                              ;   in Loop: Header=BB15_9 Depth=1
	s_or_b64 exec, exec, s[0:1]
	v_add_u32_e32 v12, 5, v22
	v_cmp_eq_u32_e32 vcc, v12, v17
	v_pk_mov_b32 v[12:13], v[10:11], v[10:11] op_sel:[0,1]
	s_waitcnt lgkmcnt(0)
	;; [unrolled: 17-line block ×4, first 2 shown]
	v_mov_b32_e32 v15, v13
	s_and_saveexec_b64 s[0:1], vcc
	s_cbranch_execz .LBB15_23
; %bb.22:                               ;   in Loop: Header=BB15_9 Depth=1
	v_lshlrev_b32_e32 v15, 2, v23
	ds_read_b32 v16, v15 offset:2048
	ds_read_u8 v15, v23
	s_waitcnt lgkmcnt(1)
	v_sub_u32_e32 v16, 0, v16
	v_add_co_u32_e32 v16, vcc, v22, v16
.LBB15_23:                              ;   in Loop: Header=BB15_9 Depth=1
	s_or_b64 exec, exec, s[0:1]
	s_min_u32 s20, s19, 0x800
	v_mov_b32_e32 v17, s15
	v_add_co_u32_e32 v22, vcc, s14, v19
	v_addc_co_u32_e32 v23, vcc, v21, v17, vcc
	v_cmp_gt_u32_e64 s[12:13], s20, v20
	s_and_saveexec_b64 s[0:1], s[12:13]
	s_cbranch_execnz .LBB15_39
; %bb.24:                               ;   in Loop: Header=BB15_9 Depth=1
	s_or_b64 exec, exec, s[0:1]
	v_cmp_gt_u32_e64 s[10:11], s20, v25
	s_and_saveexec_b64 s[0:1], s[10:11]
	s_cbranch_execnz .LBB15_40
.LBB15_25:                              ;   in Loop: Header=BB15_9 Depth=1
	s_or_b64 exec, exec, s[0:1]
	v_cmp_gt_u32_e64 s[8:9], s20, v26
	s_and_saveexec_b64 s[0:1], s[8:9]
	s_cbranch_execnz .LBB15_41
.LBB15_26:                              ;   in Loop: Header=BB15_9 Depth=1
	s_or_b64 exec, exec, s[0:1]
	v_cmp_gt_u32_e64 s[6:7], s20, v27
	s_and_saveexec_b64 s[0:1], s[6:7]
	s_cbranch_execnz .LBB15_42
.LBB15_27:                              ;   in Loop: Header=BB15_9 Depth=1
	s_or_b64 exec, exec, s[0:1]
	v_cmp_gt_u32_e64 s[4:5], s20, v28
	s_and_saveexec_b64 s[0:1], s[4:5]
	s_cbranch_execnz .LBB15_43
.LBB15_28:                              ;   in Loop: Header=BB15_9 Depth=1
	s_or_b64 exec, exec, s[0:1]
	v_cmp_gt_u32_e64 s[2:3], s20, v29
	s_and_saveexec_b64 s[0:1], s[2:3]
	s_cbranch_execnz .LBB15_44
.LBB15_29:                              ;   in Loop: Header=BB15_9 Depth=1
	s_or_b64 exec, exec, s[0:1]
	v_cmp_gt_u32_e64 s[0:1], s20, v30
	s_and_saveexec_b64 s[16:17], s[0:1]
	s_cbranch_execnz .LBB15_45
.LBB15_30:                              ;   in Loop: Header=BB15_9 Depth=1
	s_or_b64 exec, exec, s[16:17]
	v_cmp_gt_u32_e32 vcc, s20, v31
	s_and_saveexec_b64 s[16:17], vcc
	s_cbranch_execnz .LBB15_46
.LBB15_31:                              ;   in Loop: Header=BB15_9 Depth=1
	s_or_b64 exec, exec, s[16:17]
	s_and_saveexec_b64 s[16:17], s[12:13]
	s_cbranch_execnz .LBB15_47
.LBB15_32:                              ;   in Loop: Header=BB15_9 Depth=1
	s_or_b64 exec, exec, s[16:17]
	s_and_saveexec_b64 s[12:13], s[10:11]
	s_cbranch_execnz .LBB15_48
.LBB15_33:                              ;   in Loop: Header=BB15_9 Depth=1
	s_or_b64 exec, exec, s[12:13]
	s_and_saveexec_b64 s[10:11], s[8:9]
	s_cbranch_execnz .LBB15_49
.LBB15_34:                              ;   in Loop: Header=BB15_9 Depth=1
	s_or_b64 exec, exec, s[10:11]
	s_and_saveexec_b64 s[8:9], s[6:7]
	s_cbranch_execnz .LBB15_50
.LBB15_35:                              ;   in Loop: Header=BB15_9 Depth=1
	s_or_b64 exec, exec, s[8:9]
	s_and_saveexec_b64 s[6:7], s[4:5]
	s_cbranch_execnz .LBB15_51
.LBB15_36:                              ;   in Loop: Header=BB15_9 Depth=1
	s_or_b64 exec, exec, s[6:7]
	s_and_saveexec_b64 s[4:5], s[2:3]
	s_cbranch_execnz .LBB15_52
.LBB15_37:                              ;   in Loop: Header=BB15_9 Depth=1
	s_or_b64 exec, exec, s[4:5]
	s_and_saveexec_b64 s[2:3], s[0:1]
	s_cbranch_execnz .LBB15_53
.LBB15_38:                              ;   in Loop: Header=BB15_9 Depth=1
	s_or_b64 exec, exec, s[2:3]
	s_and_saveexec_b64 s[0:1], vcc
	s_cbranch_execz .LBB15_8
	s_branch .LBB15_54
.LBB15_39:                              ;   in Loop: Header=BB15_9 Depth=1
	global_store_byte v[22:23], v38, off
	s_or_b64 exec, exec, s[0:1]
	v_cmp_gt_u32_e64 s[10:11], s20, v25
	s_and_saveexec_b64 s[0:1], s[10:11]
	s_cbranch_execz .LBB15_25
.LBB15_40:                              ;   in Loop: Header=BB15_9 Depth=1
	global_store_byte v[22:23], v37, off offset:1
	s_or_b64 exec, exec, s[0:1]
	v_cmp_gt_u32_e64 s[8:9], s20, v26
	s_and_saveexec_b64 s[0:1], s[8:9]
	s_cbranch_execz .LBB15_26
.LBB15_41:                              ;   in Loop: Header=BB15_9 Depth=1
	global_store_byte v[22:23], v5, off offset:2
	s_or_b64 exec, exec, s[0:1]
	v_cmp_gt_u32_e64 s[6:7], s20, v27
	s_and_saveexec_b64 s[0:1], s[6:7]
	s_cbranch_execz .LBB15_27
.LBB15_42:                              ;   in Loop: Header=BB15_9 Depth=1
	global_store_byte v[22:23], v7, off offset:3
	s_or_b64 exec, exec, s[0:1]
	v_cmp_gt_u32_e64 s[4:5], s20, v28
	s_and_saveexec_b64 s[0:1], s[4:5]
	s_cbranch_execz .LBB15_28
.LBB15_43:                              ;   in Loop: Header=BB15_9 Depth=1
	global_store_byte v[22:23], v9, off offset:4
	s_or_b64 exec, exec, s[0:1]
	v_cmp_gt_u32_e64 s[2:3], s20, v29
	s_and_saveexec_b64 s[0:1], s[2:3]
	s_cbranch_execz .LBB15_29
.LBB15_44:                              ;   in Loop: Header=BB15_9 Depth=1
	global_store_byte v[22:23], v11, off offset:5
	s_or_b64 exec, exec, s[0:1]
	v_cmp_gt_u32_e64 s[0:1], s20, v30
	s_and_saveexec_b64 s[16:17], s[0:1]
	s_cbranch_execz .LBB15_30
.LBB15_45:                              ;   in Loop: Header=BB15_9 Depth=1
	global_store_byte v[22:23], v13, off offset:6
	s_or_b64 exec, exec, s[16:17]
	v_cmp_gt_u32_e32 vcc, s20, v31
	s_and_saveexec_b64 s[16:17], vcc
	s_cbranch_execz .LBB15_31
.LBB15_46:                              ;   in Loop: Header=BB15_9 Depth=1
	s_waitcnt lgkmcnt(0)
	global_store_byte v[22:23], v15, off offset:7
	s_or_b64 exec, exec, s[16:17]
	s_and_saveexec_b64 s[16:17], s[12:13]
	s_cbranch_execz .LBB15_32
.LBB15_47:                              ;   in Loop: Header=BB15_9 Depth=1
	global_store_dwordx2 v[2:3], v[0:1], off offset:-56
	s_or_b64 exec, exec, s[16:17]
	s_and_saveexec_b64 s[12:13], s[10:11]
	s_cbranch_execz .LBB15_33
.LBB15_48:                              ;   in Loop: Header=BB15_9 Depth=1
	v_add_u32_e32 v0, 1, v4
	global_store_dwordx2 v[2:3], v[0:1], off offset:-48
	s_or_b64 exec, exec, s[12:13]
	s_and_saveexec_b64 s[10:11], s[8:9]
	s_cbranch_execz .LBB15_34
.LBB15_49:                              ;   in Loop: Header=BB15_9 Depth=1
	v_add_u32_e32 v0, 2, v6
	global_store_dwordx2 v[2:3], v[0:1], off offset:-40
	s_or_b64 exec, exec, s[10:11]
	s_and_saveexec_b64 s[8:9], s[6:7]
	s_cbranch_execz .LBB15_35
.LBB15_50:                              ;   in Loop: Header=BB15_9 Depth=1
	v_add_u32_e32 v0, 3, v8
	global_store_dwordx2 v[2:3], v[0:1], off offset:-32
	s_or_b64 exec, exec, s[8:9]
	s_and_saveexec_b64 s[6:7], s[4:5]
	s_cbranch_execz .LBB15_36
.LBB15_51:                              ;   in Loop: Header=BB15_9 Depth=1
	v_add_u32_e32 v0, 4, v10
	global_store_dwordx2 v[2:3], v[0:1], off offset:-24
	s_or_b64 exec, exec, s[6:7]
	s_and_saveexec_b64 s[4:5], s[2:3]
	s_cbranch_execz .LBB15_37
.LBB15_52:                              ;   in Loop: Header=BB15_9 Depth=1
	v_add_u32_e32 v0, 5, v12
	global_store_dwordx2 v[2:3], v[0:1], off offset:-16
	s_or_b64 exec, exec, s[4:5]
	s_and_saveexec_b64 s[2:3], s[0:1]
	s_cbranch_execz .LBB15_38
.LBB15_53:                              ;   in Loop: Header=BB15_9 Depth=1
	v_add_u32_e32 v0, 6, v14
	global_store_dwordx2 v[2:3], v[0:1], off offset:-8
	s_or_b64 exec, exec, s[2:3]
	s_and_saveexec_b64 s[0:1], vcc
	s_cbranch_execz .LBB15_8
.LBB15_54:                              ;   in Loop: Header=BB15_9 Depth=1
	v_add_u32_e32 v0, 7, v16
	global_store_dwordx2 v[2:3], v[0:1], off
	s_branch .LBB15_8
.LBB15_55:
	s_endpgm
	.section	.rodata,"a",@progbits
	.p2align	6, 0x0
	.amdhsa_kernel _Z30block_run_length_decode_kernelIcxLj256ELj8ELj8EEvPKT_PKT0_PS0_PS3_
		.amdhsa_group_segment_fixed_size 10240
		.amdhsa_private_segment_fixed_size 0
		.amdhsa_kernarg_size 32
		.amdhsa_user_sgpr_count 6
		.amdhsa_user_sgpr_private_segment_buffer 1
		.amdhsa_user_sgpr_dispatch_ptr 0
		.amdhsa_user_sgpr_queue_ptr 0
		.amdhsa_user_sgpr_kernarg_segment_ptr 1
		.amdhsa_user_sgpr_dispatch_id 0
		.amdhsa_user_sgpr_flat_scratch_init 0
		.amdhsa_user_sgpr_kernarg_preload_length 0
		.amdhsa_user_sgpr_kernarg_preload_offset 0
		.amdhsa_user_sgpr_private_segment_size 0
		.amdhsa_uses_dynamic_stack 0
		.amdhsa_system_sgpr_private_segment_wavefront_offset 0
		.amdhsa_system_sgpr_workgroup_id_x 1
		.amdhsa_system_sgpr_workgroup_id_y 0
		.amdhsa_system_sgpr_workgroup_id_z 0
		.amdhsa_system_sgpr_workgroup_info 0
		.amdhsa_system_vgpr_workitem_id 0
		.amdhsa_next_free_vgpr 39
		.amdhsa_next_free_sgpr 21
		.amdhsa_accum_offset 40
		.amdhsa_reserve_vcc 1
		.amdhsa_reserve_flat_scratch 0
		.amdhsa_float_round_mode_32 0
		.amdhsa_float_round_mode_16_64 0
		.amdhsa_float_denorm_mode_32 3
		.amdhsa_float_denorm_mode_16_64 3
		.amdhsa_dx10_clamp 1
		.amdhsa_ieee_mode 1
		.amdhsa_fp16_overflow 0
		.amdhsa_tg_split 0
		.amdhsa_exception_fp_ieee_invalid_op 0
		.amdhsa_exception_fp_denorm_src 0
		.amdhsa_exception_fp_ieee_div_zero 0
		.amdhsa_exception_fp_ieee_overflow 0
		.amdhsa_exception_fp_ieee_underflow 0
		.amdhsa_exception_fp_ieee_inexact 0
		.amdhsa_exception_int_div_zero 0
	.end_amdhsa_kernel
	.section	.text._Z30block_run_length_decode_kernelIcxLj256ELj8ELj8EEvPKT_PKT0_PS0_PS3_,"axG",@progbits,_Z30block_run_length_decode_kernelIcxLj256ELj8ELj8EEvPKT_PKT0_PS0_PS3_,comdat
.Lfunc_end15:
	.size	_Z30block_run_length_decode_kernelIcxLj256ELj8ELj8EEvPKT_PKT0_PS0_PS3_, .Lfunc_end15-_Z30block_run_length_decode_kernelIcxLj256ELj8ELj8EEvPKT_PKT0_PS0_PS3_
                                        ; -- End function
	.section	.AMDGPU.csdata,"",@progbits
; Kernel info:
; codeLenInByte = 2764
; NumSgprs: 25
; NumVgprs: 39
; NumAgprs: 0
; TotalNumVgprs: 39
; ScratchSize: 0
; MemoryBound: 0
; FloatMode: 240
; IeeeMode: 1
; LDSByteSize: 10240 bytes/workgroup (compile time only)
; SGPRBlocks: 3
; VGPRBlocks: 4
; NumSGPRsForWavesPerEU: 25
; NumVGPRsForWavesPerEU: 39
; AccumOffset: 40
; Occupancy: 6
; WaveLimiterHint : 0
; COMPUTE_PGM_RSRC2:SCRATCH_EN: 0
; COMPUTE_PGM_RSRC2:USER_SGPR: 6
; COMPUTE_PGM_RSRC2:TRAP_HANDLER: 0
; COMPUTE_PGM_RSRC2:TGID_X_EN: 1
; COMPUTE_PGM_RSRC2:TGID_Y_EN: 0
; COMPUTE_PGM_RSRC2:TGID_Z_EN: 0
; COMPUTE_PGM_RSRC2:TIDIG_COMP_CNT: 0
; COMPUTE_PGM_RSRC3_GFX90A:ACCUM_OFFSET: 9
; COMPUTE_PGM_RSRC3_GFX90A:TG_SPLIT: 0
	.section	.text._Z30block_run_length_decode_kernelIdcLj256ELj8ELj8EEvPKT_PKT0_PS0_PS3_,"axG",@progbits,_Z30block_run_length_decode_kernelIdcLj256ELj8ELj8EEvPKT_PKT0_PS0_PS3_,comdat
	.protected	_Z30block_run_length_decode_kernelIdcLj256ELj8ELj8EEvPKT_PKT0_PS0_PS3_ ; -- Begin function _Z30block_run_length_decode_kernelIdcLj256ELj8ELj8EEvPKT_PKT0_PS0_PS3_
	.globl	_Z30block_run_length_decode_kernelIdcLj256ELj8ELj8EEvPKT_PKT0_PS0_PS3_
	.p2align	8
	.type	_Z30block_run_length_decode_kernelIdcLj256ELj8ELj8EEvPKT_PKT0_PS0_PS3_,@function
_Z30block_run_length_decode_kernelIdcLj256ELj8ELj8EEvPKT_PKT0_PS0_PS3_: ; @_Z30block_run_length_decode_kernelIdcLj256ELj8ELj8EEvPKT_PKT0_PS0_PS3_
; %bb.0:
	s_load_dwordx8 s[8:15], s[4:5], 0x0
	v_lshlrev_b32_e32 v18, 3, v0
	v_lshl_or_b32 v20, s6, 11, v18
	v_mov_b32_e32 v21, 0
	v_lshlrev_b64 v[22:23], 3, v[20:21]
	s_waitcnt lgkmcnt(0)
	global_load_dwordx2 v[24:25], v20, s[10:11]
	v_mov_b32_e32 v1, s9
	v_add_co_u32_e32 v26, vcc, s8, v22
	v_addc_co_u32_e32 v27, vcc, v1, v23, vcc
	global_load_dwordx4 v[2:5], v[26:27], off offset:48
	global_load_dwordx4 v[6:9], v[26:27], off offset:32
	;; [unrolled: 1-line block ×3, first 2 shown]
	global_load_dwordx4 v[14:17], v[26:27], off
	v_mbcnt_lo_u32_b32 v1, -1, 0
	v_mbcnt_hi_u32_b32 v1, -1, v1
	v_and_b32_e32 v31, 15, v1
	v_cmp_ne_u32_e32 vcc, 0, v31
	v_bfe_i32 v32, v1, 4, 1
	v_or_b32_e32 v30, 63, v0
	v_lshrrev_b32_e32 v29, 6, v0
	s_waitcnt vmcnt(4)
	v_bfe_i32 v28, v24, 16, 8
	v_ashrrev_i32_e32 v19, 24, v24
	v_add_u32_sdwa v33, sext(v24), sext(v24) dst_sel:DWORD dst_unused:UNUSED_PAD src0_sel:BYTE_1 src1_sel:BYTE_0
	v_bfe_i32 v21, v25, 0, 8
	v_bfe_i32 v26, v25, 8, 8
	v_add3_u32 v33, v33, v28, v19
	v_bfe_i32 v27, v25, 16, 8
	v_ashrrev_i32_e32 v25, 24, v25
	v_add3_u32 v33, v33, v21, v26
	v_add3_u32 v25, v33, v27, v25
	s_nop 1
	v_mov_b32_dpp v33, v25 row_shr:1 row_mask:0xf bank_mask:0xf
	v_cndmask_b32_e32 v33, 0, v33, vcc
	v_add_u32_e32 v25, v33, v25
	v_cmp_lt_u32_e32 vcc, 1, v31
	s_nop 0
	v_mov_b32_dpp v33, v25 row_shr:2 row_mask:0xf bank_mask:0xf
	v_cndmask_b32_e32 v33, 0, v33, vcc
	v_add_u32_e32 v25, v25, v33
	v_cmp_lt_u32_e32 vcc, 3, v31
	;; [unrolled: 5-line block ×4, first 2 shown]
	s_nop 0
	v_mov_b32_dpp v31, v25 row_bcast:15 row_mask:0xf bank_mask:0xf
	v_and_b32_e32 v31, v32, v31
	v_add_u32_e32 v25, v25, v31
	s_nop 1
	v_mov_b32_dpp v31, v25 row_bcast:31 row_mask:0xf bank_mask:0xf
	v_cndmask_b32_e32 v31, 0, v31, vcc
	v_add_u32_e32 v25, v25, v31
	v_cmp_eq_u32_e32 vcc, v30, v0
	s_and_saveexec_b64 s[0:1], vcc
	s_cbranch_execz .LBB16_2
; %bb.1:
	v_lshlrev_b32_e32 v30, 2, v29
	ds_write_b32 v30, v25
.LBB16_2:
	s_or_b64 exec, exec, s[0:1]
	v_cmp_gt_u32_e32 vcc, 4, v0
	s_waitcnt lgkmcnt(0)
	s_barrier
	s_and_saveexec_b64 s[0:1], vcc
	s_cbranch_execz .LBB16_4
; %bb.3:
	v_lshlrev_b32_e32 v30, 2, v0
	ds_read_b32 v31, v30
	v_and_b32_e32 v32, 3, v1
	v_cmp_ne_u32_e32 vcc, 0, v32
	s_waitcnt lgkmcnt(0)
	v_mov_b32_dpp v33, v31 row_shr:1 row_mask:0xf bank_mask:0xf
	v_cndmask_b32_e32 v33, 0, v33, vcc
	v_add_u32_e32 v31, v33, v31
	v_cmp_lt_u32_e32 vcc, 1, v32
	s_nop 0
	v_mov_b32_dpp v33, v31 row_shr:2 row_mask:0xf bank_mask:0xf
	v_cndmask_b32_e32 v32, 0, v33, vcc
	v_add_u32_e32 v31, v31, v32
	ds_write_b32 v30, v31
.LBB16_4:
	s_or_b64 exec, exec, s[0:1]
	v_cmp_lt_u32_e32 vcc, 63, v0
	v_mov_b32_e32 v30, 0
	v_mov_b32_e32 v31, 0
	s_waitcnt lgkmcnt(0)
	s_barrier
	s_and_saveexec_b64 s[0:1], vcc
	s_cbranch_execz .LBB16_6
; %bb.5:
	v_lshl_add_u32 v29, v29, 2, -4
	ds_read_b32 v31, v29
.LBB16_6:
	s_or_b64 exec, exec, s[0:1]
	v_add_u32_e32 v29, -1, v1
	v_and_b32_e32 v32, 64, v1
	v_cmp_lt_i32_e32 vcc, v29, v32
	v_cndmask_b32_e32 v29, v29, v1, vcc
	s_waitcnt lgkmcnt(0)
	v_add_u32_e32 v25, v31, v25
	v_lshlrev_b32_e32 v29, 2, v29
	ds_bpermute_b32 v25, v29, v25
	v_cmp_eq_u32_e32 vcc, 0, v1
	v_lshlrev_b32_e32 v29, 3, v18
	s_waitcnt lgkmcnt(0)
	v_cndmask_b32_e32 v1, v25, v31, vcc
	v_cmp_ne_u32_e32 vcc, 0, v0
	v_cndmask_b32_e32 v0, 0, v1, vcc
	v_add_u32_sdwa v1, v0, sext(v24) dst_sel:DWORD dst_unused:UNUSED_PAD src0_sel:DWORD src1_sel:BYTE_0
	v_add_u32_sdwa v24, v1, sext(v24) dst_sel:DWORD dst_unused:UNUSED_PAD src0_sel:DWORD src1_sel:BYTE_1
	v_add_u32_e32 v25, v24, v28
	ds_read_b32 v28, v30 offset:12
	v_add_u32_e32 v19, v25, v19
	v_add_u32_e32 v21, v19, v21
	v_lshlrev_b32_e32 v30, 2, v18
	v_add_u32_e32 v26, v21, v26
	s_waitcnt lgkmcnt(0)
	v_cmp_eq_u32_e32 vcc, 0, v28
	v_readfirstlane_b32 s18, v28
	s_barrier
	v_or_b32_e32 v31, 0x4000, v30
	s_waitcnt vmcnt(0)
	ds_write2_b64 v29, v[14:15], v[16:17] offset1:1
	ds_write2_b32 v31, v0, v1 offset1:1
	v_add_u32_e32 v0, 0x4008, v30
	s_and_b64 vcc, exec, vcc
	v_add_u32_e32 v27, v26, v27
	ds_write2_b64 v29, v[10:11], v[12:13] offset0:2 offset1:3
	ds_write2_b32 v0, v24, v25 offset1:1
	v_add_u32_e32 v0, 0x4010, v30
	ds_write2_b64 v29, v[6:7], v[8:9] offset0:4 offset1:5
	ds_write2_b32 v0, v19, v21 offset1:1
	ds_write_b32 v30, v26 offset:16408
	ds_write2_b64 v29, v[2:3], v[4:5] offset0:6 offset1:7
	ds_write_b32 v30, v27 offset:16412
	s_waitcnt lgkmcnt(0)
	s_barrier
	s_cbranch_vccnz .LBB16_55
; %bb.7:
	v_mov_b32_e32 v0, s15
	v_add_co_u32_e32 v5, vcc, s14, v20
	v_addc_co_u32_e32 v19, vcc, 0, v0, vcc
	v_mov_b32_e32 v0, 0
	ds_read_b32 v21, v0 offset:20480
	v_mov_b32_e32 v0, s13
	v_add_co_u32_e32 v1, vcc, s12, v22
	v_addc_co_u32_e32 v2, vcc, v23, v0, vcc
	v_add_co_u32_e32 v0, vcc, 56, v1
	v_or_b32_e32 v38, 1, v20
	v_or_b32_e32 v39, 2, v20
	;; [unrolled: 1-line block ×7, first 2 shown]
	v_addc_co_u32_e32 v1, vcc, 0, v2, vcc
	s_mov_b64 s[16:17], 0
	v_mov_b32_e32 v45, 0x401
	v_mov_b32_e32 v46, 0x800
	v_mov_b32_e32 v47, 0x400
	v_mov_b32_e32 v48, 0x600
	v_mov_b32_e32 v49, 0x200
	v_mov_b32_e32 v50, 0x4000
	s_mov_b32 s19, s18
	s_branch .LBB16_9
.LBB16_8:                               ;   in Loop: Header=BB16_9 Depth=1
	s_or_b64 exec, exec, s[0:1]
	s_add_u32 s16, s16, 0x800
	s_addc_u32 s17, s17, 0
	s_addk_i32 s19, 0xf800
	v_add_co_u32_e32 v0, vcc, 0x4000, v0
	s_cmp_lt_u32 s16, s18
	v_addc_co_u32_e32 v1, vcc, 0, v1, vcc
	s_cbranch_scc0 .LBB16_55
.LBB16_9:                               ; =>This Inner Loop Header: Depth=1
	v_add_co_u32_e32 v51, vcc, s16, v18
	s_waitcnt lgkmcnt(0)
	v_cmp_gt_u32_e32 vcc, v21, v51
	v_cndmask_b32_e32 v3, v48, v49, vcc
	v_lshlrev_b32_e32 v4, 2, v3
	ds_read_b32 v4, v4 offset:16384
	v_cndmask_b32_e64 v2, v45, 0, vcc
	v_cndmask_b32_e32 v6, v46, v47, vcc
	v_or_b32_e32 v7, 1, v3
	s_waitcnt lgkmcnt(0)
	v_cmp_gt_u32_e32 vcc, v4, v51
	v_cndmask_b32_e32 v2, v7, v2, vcc
	v_cndmask_b32_e32 v3, v6, v3, vcc
	v_sub_u32_e32 v4, v3, v2
	v_lshrrev_b16_e32 v6, 15, v4
	v_add_u16_e32 v4, v4, v6
	v_ashrrev_i16_e32 v4, 1, v4
	v_add_u32_sdwa v4, v2, sext(v4) dst_sel:DWORD dst_unused:UNUSED_PAD src0_sel:DWORD src1_sel:WORD_0
	v_min_i32_e32 v4, 0x7ff, v4
	v_lshlrev_b32_e32 v6, 2, v4
	ds_read_b32 v6, v6 offset:16384
	v_add_u32_e32 v7, 1, v4
	s_waitcnt lgkmcnt(0)
	v_cmp_gt_u32_e32 vcc, v6, v51
	v_cndmask_b32_e32 v2, v7, v2, vcc
	v_cndmask_b32_e32 v3, v3, v4, vcc
	v_sub_u32_e32 v4, v3, v2
	v_lshrrev_b16_e32 v6, 15, v4
	v_add_u16_e32 v4, v4, v6
	v_ashrrev_i16_e32 v4, 1, v4
	v_add_u32_sdwa v4, v2, sext(v4) dst_sel:DWORD dst_unused:UNUSED_PAD src0_sel:DWORD src1_sel:WORD_0
	v_min_i32_e32 v4, 0x7ff, v4
	v_lshlrev_b32_e32 v6, 2, v4
	ds_read_b32 v6, v6 offset:16384
	v_add_u32_e32 v7, 1, v4
	;; [unrolled: 13-line block ×8, first 2 shown]
	s_waitcnt lgkmcnt(0)
	v_cmp_gt_u32_e32 vcc, v6, v51
	v_cndmask_b32_e32 v2, v7, v2, vcc
	v_cndmask_b32_e32 v3, v3, v4, vcc
	v_sub_u32_e32 v4, v3, v2
	v_lshrrev_b32_e32 v6, 31, v4
	v_add_u32_e32 v4, v4, v6
	v_ashrrev_i32_e32 v4, 1, v4
	v_add_u32_e32 v4, v4, v2
	v_min_i32_e32 v4, 0x7ff, v4
	v_lshlrev_b32_e32 v6, 2, v4
	ds_read_b32 v6, v6 offset:16384
	v_add_u32_e32 v7, 1, v4
	s_waitcnt lgkmcnt(0)
	v_cmp_gt_u32_e32 vcc, v6, v51
	v_cndmask_b32_e32 v2, v7, v2, vcc
	v_cndmask_b32_e32 v3, v3, v4, vcc
	v_sub_u32_e32 v3, v3, v2
	v_lshrrev_b32_e32 v4, 31, v3
	v_add_u32_e32 v3, v3, v4
	v_ashrrev_i32_e32 v3, 1, v3
	v_add_u32_e32 v3, v3, v2
	v_min_i32_e32 v3, 0x7ff, v3
	v_lshlrev_b32_e32 v4, 2, v3
	ds_read_b32 v4, v4 offset:16384
	v_add_u32_e32 v3, 1, v3
	s_waitcnt lgkmcnt(0)
	v_cmp_gt_u32_e32 vcc, v4, v51
	v_cndmask_b32_e32 v52, v3, v2, vcc
	v_lshlrev_b32_e32 v4, 2, v52
	v_add_u32_e32 v2, 0x3ffc, v4
	v_lshl_add_u32 v6, v52, 3, -8
	ds_read2_b32 v[2:3], v2 offset1:1
	ds_read_b64 v[12:13], v6
	v_add_u32_e32 v6, 1, v51
	s_waitcnt lgkmcnt(1)
	v_cmp_eq_u32_e32 vcc, v6, v3
	v_mov_b32_e32 v6, v2
	s_waitcnt lgkmcnt(0)
	v_pk_mov_b32 v[14:15], v[12:13], v[12:13] op_sel:[0,1]
	s_and_saveexec_b64 s[0:1], vcc
	s_cbranch_execz .LBB16_11
; %bb.10:                               ;   in Loop: Header=BB16_9 Depth=1
	v_lshlrev_b32_e32 v6, 3, v52
	ds_read_b32 v4, v4 offset:16388
	ds_read_b64 v[14:15], v6
	v_add_u32_e32 v52, 1, v52
	v_mov_b32_e32 v6, v3
	s_waitcnt lgkmcnt(1)
	v_mov_b32_e32 v3, v4
.LBB16_11:                              ;   in Loop: Header=BB16_9 Depth=1
	s_or_b64 exec, exec, s[0:1]
	v_sub_u32_e32 v4, 0, v6
	v_add_co_u32_e32 v4, vcc, v51, v4
	v_add_u32_e32 v6, 2, v51
	v_cmp_eq_u32_e32 vcc, v6, v3
	v_pk_mov_b32 v[6:7], v[4:5], v[4:5] op_sel:[0,1]
	s_waitcnt lgkmcnt(0)
	v_pk_mov_b32 v[22:23], v[14:15], v[14:15] op_sel:[0,1]
	s_and_saveexec_b64 s[0:1], vcc
	s_cbranch_execz .LBB16_13
; %bb.12:                               ;   in Loop: Header=BB16_9 Depth=1
	v_add_u32_e32 v7, 1, v52
	v_lshlrev_b32_e32 v8, 3, v52
	v_lshlrev_b32_e32 v6, 2, v7
	ds_read_b64 v[22:23], v8
	ds_read_b32 v8, v6 offset:16384
	v_sub_u32_e32 v3, 0, v3
	v_add_co_u32_e32 v6, vcc, v51, v3
	v_mov_b32_e32 v52, v7
	s_waitcnt lgkmcnt(0)
	v_mov_b32_e32 v3, v8
.LBB16_13:                              ;   in Loop: Header=BB16_9 Depth=1
	s_or_b64 exec, exec, s[0:1]
	v_add_u32_e32 v8, 3, v51
	v_cmp_eq_u32_e32 vcc, v8, v3
	v_pk_mov_b32 v[8:9], v[6:7], v[6:7] op_sel:[0,1]
	v_pk_mov_b32 v[26:27], v[22:23], v[22:23] op_sel:[0,1]
	s_and_saveexec_b64 s[0:1], vcc
	s_cbranch_execz .LBB16_15
; %bb.14:                               ;   in Loop: Header=BB16_9 Depth=1
	v_lshl_add_u32 v3, v52, 2, v50
	ds_read2_b32 v[8:9], v3 offset1:1
	v_lshlrev_b32_e32 v3, 3, v52
	ds_read_b64 v[26:27], v3
	v_add_u32_e32 v52, 1, v52
	s_waitcnt lgkmcnt(1)
	v_sub_u32_e32 v3, 0, v8
	v_add_co_u32_e32 v8, vcc, v51, v3
	v_mov_b32_e32 v3, v9
.LBB16_15:                              ;   in Loop: Header=BB16_9 Depth=1
	s_or_b64 exec, exec, s[0:1]
	v_add_u32_e32 v7, 4, v51
	v_cmp_eq_u32_e32 vcc, v7, v3
	v_pk_mov_b32 v[10:11], v[8:9], v[8:9] op_sel:[0,1]
	s_waitcnt lgkmcnt(0)
	v_pk_mov_b32 v[30:31], v[26:27], v[26:27] op_sel:[0,1]
	s_and_saveexec_b64 s[0:1], vcc
	s_cbranch_execz .LBB16_17
; %bb.16:                               ;   in Loop: Header=BB16_9 Depth=1
	v_lshl_add_u32 v3, v52, 2, v50
	ds_read2_b32 v[10:11], v3 offset1:1
	v_lshlrev_b32_e32 v3, 3, v52
	ds_read_b64 v[30:31], v3
	v_add_u32_e32 v52, 1, v52
	s_waitcnt lgkmcnt(1)
	v_sub_u32_e32 v3, 0, v10
	v_add_co_u32_e32 v10, vcc, v51, v3
	v_mov_b32_e32 v3, v11
.LBB16_17:                              ;   in Loop: Header=BB16_9 Depth=1
	s_or_b64 exec, exec, s[0:1]
	v_add_u32_e32 v7, 5, v51
	v_cmp_eq_u32_e32 vcc, v7, v3
	v_pk_mov_b32 v[16:17], v[10:11], v[10:11] op_sel:[0,1]
	s_waitcnt lgkmcnt(0)
	;; [unrolled: 19-line block ×4, first 2 shown]
	v_pk_mov_b32 v[36:37], v[34:35], v[34:35] op_sel:[0,1]
	s_and_saveexec_b64 s[0:1], vcc
	s_cbranch_execz .LBB16_23
; %bb.22:                               ;   in Loop: Header=BB16_9 Depth=1
	v_lshlrev_b32_e32 v3, 2, v52
	ds_read_b32 v3, v3 offset:16384
	v_lshlrev_b32_e32 v7, 3, v52
	ds_read_b64 v[36:37], v7
	s_waitcnt lgkmcnt(1)
	v_sub_u32_e32 v3, 0, v3
	v_add_co_u32_e32 v28, vcc, v51, v3
.LBB16_23:                              ;   in Loop: Header=BB16_9 Depth=1
	s_or_b64 exec, exec, s[0:1]
	s_min_u32 s14, s19, 0x800
	v_cmp_gt_u32_e32 vcc, s14, v20
	s_and_saveexec_b64 s[0:1], vcc
	s_cbranch_execnz .LBB16_40
; %bb.24:                               ;   in Loop: Header=BB16_9 Depth=1
	s_or_b64 exec, exec, s[0:1]
	v_cmp_gt_u32_e64 s[0:1], s14, v38
	s_and_saveexec_b64 s[2:3], s[0:1]
	s_cbranch_execnz .LBB16_41
.LBB16_25:                              ;   in Loop: Header=BB16_9 Depth=1
	s_or_b64 exec, exec, s[2:3]
	v_cmp_gt_u32_e64 s[2:3], s14, v39
	s_and_saveexec_b64 s[4:5], s[2:3]
	s_cbranch_execnz .LBB16_42
.LBB16_26:                              ;   in Loop: Header=BB16_9 Depth=1
	s_or_b64 exec, exec, s[4:5]
	v_cmp_gt_u32_e64 s[4:5], s14, v40
	s_and_saveexec_b64 s[6:7], s[4:5]
	s_cbranch_execnz .LBB16_43
.LBB16_27:                              ;   in Loop: Header=BB16_9 Depth=1
	s_or_b64 exec, exec, s[6:7]
	v_cmp_gt_u32_e64 s[6:7], s14, v41
	s_and_saveexec_b64 s[8:9], s[6:7]
	s_cbranch_execnz .LBB16_44
.LBB16_28:                              ;   in Loop: Header=BB16_9 Depth=1
	s_or_b64 exec, exec, s[8:9]
	v_cmp_gt_u32_e64 s[8:9], s14, v42
	s_and_saveexec_b64 s[10:11], s[8:9]
	s_cbranch_execnz .LBB16_45
.LBB16_29:                              ;   in Loop: Header=BB16_9 Depth=1
	s_or_b64 exec, exec, s[10:11]
	v_cmp_gt_u32_e64 s[10:11], s14, v43
	s_and_saveexec_b64 s[12:13], s[10:11]
	s_cbranch_execnz .LBB16_46
.LBB16_30:                              ;   in Loop: Header=BB16_9 Depth=1
	s_or_b64 exec, exec, s[12:13]
	v_cmp_gt_u32_e64 s[12:13], s14, v44
	s_and_saveexec_b64 s[14:15], s[12:13]
	s_cbranch_execz .LBB16_32
.LBB16_31:                              ;   in Loop: Header=BB16_9 Depth=1
	s_waitcnt lgkmcnt(0)
	global_store_dwordx2 v[0:1], v[36:37], off
.LBB16_32:                              ;   in Loop: Header=BB16_9 Depth=1
	s_or_b64 exec, exec, s[14:15]
	v_mov_b32_e32 v3, s17
	v_add_co_u32_e64 v12, s[14:15], s16, v5
	v_addc_co_u32_e64 v13, s[14:15], v19, v3, s[14:15]
	s_and_saveexec_b64 s[14:15], vcc
	s_cbranch_execnz .LBB16_47
; %bb.33:                               ;   in Loop: Header=BB16_9 Depth=1
	s_or_b64 exec, exec, s[14:15]
	s_and_saveexec_b64 s[14:15], s[0:1]
	s_cbranch_execnz .LBB16_48
.LBB16_34:                              ;   in Loop: Header=BB16_9 Depth=1
	s_or_b64 exec, exec, s[14:15]
	s_and_saveexec_b64 s[0:1], s[2:3]
	s_cbranch_execnz .LBB16_49
.LBB16_35:                              ;   in Loop: Header=BB16_9 Depth=1
	s_or_b64 exec, exec, s[0:1]
	s_and_saveexec_b64 s[0:1], s[4:5]
	s_cbranch_execnz .LBB16_50
.LBB16_36:                              ;   in Loop: Header=BB16_9 Depth=1
	s_or_b64 exec, exec, s[0:1]
	s_and_saveexec_b64 s[0:1], s[6:7]
	s_cbranch_execnz .LBB16_51
.LBB16_37:                              ;   in Loop: Header=BB16_9 Depth=1
	s_or_b64 exec, exec, s[0:1]
	s_and_saveexec_b64 s[0:1], s[8:9]
	s_cbranch_execnz .LBB16_52
.LBB16_38:                              ;   in Loop: Header=BB16_9 Depth=1
	s_or_b64 exec, exec, s[0:1]
	s_and_saveexec_b64 s[0:1], s[10:11]
	s_cbranch_execnz .LBB16_53
.LBB16_39:                              ;   in Loop: Header=BB16_9 Depth=1
	s_or_b64 exec, exec, s[0:1]
	s_and_saveexec_b64 s[0:1], s[12:13]
	s_cbranch_execz .LBB16_8
	s_branch .LBB16_54
.LBB16_40:                              ;   in Loop: Header=BB16_9 Depth=1
	global_store_dwordx2 v[0:1], v[12:13], off offset:-56
	s_or_b64 exec, exec, s[0:1]
	v_cmp_gt_u32_e64 s[0:1], s14, v38
	s_and_saveexec_b64 s[2:3], s[0:1]
	s_cbranch_execz .LBB16_25
.LBB16_41:                              ;   in Loop: Header=BB16_9 Depth=1
	global_store_dwordx2 v[0:1], v[14:15], off offset:-48
	s_or_b64 exec, exec, s[2:3]
	v_cmp_gt_u32_e64 s[2:3], s14, v39
	s_and_saveexec_b64 s[4:5], s[2:3]
	s_cbranch_execz .LBB16_26
.LBB16_42:                              ;   in Loop: Header=BB16_9 Depth=1
	global_store_dwordx2 v[0:1], v[22:23], off offset:-40
	s_or_b64 exec, exec, s[4:5]
	v_cmp_gt_u32_e64 s[4:5], s14, v40
	s_and_saveexec_b64 s[6:7], s[4:5]
	s_cbranch_execz .LBB16_27
.LBB16_43:                              ;   in Loop: Header=BB16_9 Depth=1
	global_store_dwordx2 v[0:1], v[26:27], off offset:-32
	s_or_b64 exec, exec, s[6:7]
	v_cmp_gt_u32_e64 s[6:7], s14, v41
	s_and_saveexec_b64 s[8:9], s[6:7]
	s_cbranch_execz .LBB16_28
.LBB16_44:                              ;   in Loop: Header=BB16_9 Depth=1
	global_store_dwordx2 v[0:1], v[30:31], off offset:-24
	s_or_b64 exec, exec, s[8:9]
	v_cmp_gt_u32_e64 s[8:9], s14, v42
	s_and_saveexec_b64 s[10:11], s[8:9]
	s_cbranch_execz .LBB16_29
.LBB16_45:                              ;   in Loop: Header=BB16_9 Depth=1
	global_store_dwordx2 v[0:1], v[32:33], off offset:-16
	s_or_b64 exec, exec, s[10:11]
	v_cmp_gt_u32_e64 s[10:11], s14, v43
	s_and_saveexec_b64 s[12:13], s[10:11]
	s_cbranch_execz .LBB16_30
.LBB16_46:                              ;   in Loop: Header=BB16_9 Depth=1
	global_store_dwordx2 v[0:1], v[34:35], off offset:-8
	s_or_b64 exec, exec, s[12:13]
	v_cmp_gt_u32_e64 s[12:13], s14, v44
	s_and_saveexec_b64 s[14:15], s[12:13]
	s_cbranch_execnz .LBB16_31
	s_branch .LBB16_32
.LBB16_47:                              ;   in Loop: Header=BB16_9 Depth=1
	v_sub_u32_e32 v2, v18, v2
	global_store_byte v[12:13], v2, off
	s_or_b64 exec, exec, s[14:15]
	s_and_saveexec_b64 s[14:15], s[0:1]
	s_cbranch_execz .LBB16_34
.LBB16_48:                              ;   in Loop: Header=BB16_9 Depth=1
	v_add_u16_e32 v2, 1, v4
	global_store_byte v[12:13], v2, off offset:1
	s_or_b64 exec, exec, s[14:15]
	s_and_saveexec_b64 s[0:1], s[2:3]
	s_cbranch_execz .LBB16_35
.LBB16_49:                              ;   in Loop: Header=BB16_9 Depth=1
	v_add_u16_e32 v2, 2, v6
	global_store_byte v[12:13], v2, off offset:2
	s_or_b64 exec, exec, s[0:1]
	s_and_saveexec_b64 s[0:1], s[4:5]
	s_cbranch_execz .LBB16_36
.LBB16_50:                              ;   in Loop: Header=BB16_9 Depth=1
	v_add_u16_e32 v2, 3, v8
	global_store_byte v[12:13], v2, off offset:3
	s_or_b64 exec, exec, s[0:1]
	s_and_saveexec_b64 s[0:1], s[6:7]
	s_cbranch_execz .LBB16_37
.LBB16_51:                              ;   in Loop: Header=BB16_9 Depth=1
	v_add_u16_e32 v2, 4, v10
	global_store_byte v[12:13], v2, off offset:4
	s_or_b64 exec, exec, s[0:1]
	s_and_saveexec_b64 s[0:1], s[8:9]
	s_cbranch_execz .LBB16_38
.LBB16_52:                              ;   in Loop: Header=BB16_9 Depth=1
	v_add_u16_e32 v2, 5, v16
	global_store_byte v[12:13], v2, off offset:5
	s_or_b64 exec, exec, s[0:1]
	s_and_saveexec_b64 s[0:1], s[10:11]
	s_cbranch_execz .LBB16_39
.LBB16_53:                              ;   in Loop: Header=BB16_9 Depth=1
	v_add_u16_e32 v2, 6, v24
	global_store_byte v[12:13], v2, off offset:6
	s_or_b64 exec, exec, s[0:1]
	s_and_saveexec_b64 s[0:1], s[12:13]
	s_cbranch_execz .LBB16_8
.LBB16_54:                              ;   in Loop: Header=BB16_9 Depth=1
	v_add_u16_e32 v2, 7, v28
	global_store_byte v[12:13], v2, off offset:7
	s_branch .LBB16_8
.LBB16_55:
	s_endpgm
	.section	.rodata,"a",@progbits
	.p2align	6, 0x0
	.amdhsa_kernel _Z30block_run_length_decode_kernelIdcLj256ELj8ELj8EEvPKT_PKT0_PS0_PS3_
		.amdhsa_group_segment_fixed_size 24576
		.amdhsa_private_segment_fixed_size 0
		.amdhsa_kernarg_size 32
		.amdhsa_user_sgpr_count 6
		.amdhsa_user_sgpr_private_segment_buffer 1
		.amdhsa_user_sgpr_dispatch_ptr 0
		.amdhsa_user_sgpr_queue_ptr 0
		.amdhsa_user_sgpr_kernarg_segment_ptr 1
		.amdhsa_user_sgpr_dispatch_id 0
		.amdhsa_user_sgpr_flat_scratch_init 0
		.amdhsa_user_sgpr_kernarg_preload_length 0
		.amdhsa_user_sgpr_kernarg_preload_offset 0
		.amdhsa_user_sgpr_private_segment_size 0
		.amdhsa_uses_dynamic_stack 0
		.amdhsa_system_sgpr_private_segment_wavefront_offset 0
		.amdhsa_system_sgpr_workgroup_id_x 1
		.amdhsa_system_sgpr_workgroup_id_y 0
		.amdhsa_system_sgpr_workgroup_id_z 0
		.amdhsa_system_sgpr_workgroup_info 0
		.amdhsa_system_vgpr_workitem_id 0
		.amdhsa_next_free_vgpr 53
		.amdhsa_next_free_sgpr 20
		.amdhsa_accum_offset 56
		.amdhsa_reserve_vcc 1
		.amdhsa_reserve_flat_scratch 0
		.amdhsa_float_round_mode_32 0
		.amdhsa_float_round_mode_16_64 0
		.amdhsa_float_denorm_mode_32 3
		.amdhsa_float_denorm_mode_16_64 3
		.amdhsa_dx10_clamp 1
		.amdhsa_ieee_mode 1
		.amdhsa_fp16_overflow 0
		.amdhsa_tg_split 0
		.amdhsa_exception_fp_ieee_invalid_op 0
		.amdhsa_exception_fp_denorm_src 0
		.amdhsa_exception_fp_ieee_div_zero 0
		.amdhsa_exception_fp_ieee_overflow 0
		.amdhsa_exception_fp_ieee_underflow 0
		.amdhsa_exception_fp_ieee_inexact 0
		.amdhsa_exception_int_div_zero 0
	.end_amdhsa_kernel
	.section	.text._Z30block_run_length_decode_kernelIdcLj256ELj8ELj8EEvPKT_PKT0_PS0_PS3_,"axG",@progbits,_Z30block_run_length_decode_kernelIdcLj256ELj8ELj8EEvPKT_PKT0_PS0_PS3_,comdat
.Lfunc_end16:
	.size	_Z30block_run_length_decode_kernelIdcLj256ELj8ELj8EEvPKT_PKT0_PS0_PS3_, .Lfunc_end16-_Z30block_run_length_decode_kernelIdcLj256ELj8ELj8EEvPKT_PKT0_PS0_PS3_
                                        ; -- End function
	.section	.AMDGPU.csdata,"",@progbits
; Kernel info:
; codeLenInByte = 2924
; NumSgprs: 24
; NumVgprs: 53
; NumAgprs: 0
; TotalNumVgprs: 53
; ScratchSize: 0
; MemoryBound: 0
; FloatMode: 240
; IeeeMode: 1
; LDSByteSize: 24576 bytes/workgroup (compile time only)
; SGPRBlocks: 2
; VGPRBlocks: 6
; NumSGPRsForWavesPerEU: 24
; NumVGPRsForWavesPerEU: 53
; AccumOffset: 56
; Occupancy: 2
; WaveLimiterHint : 0
; COMPUTE_PGM_RSRC2:SCRATCH_EN: 0
; COMPUTE_PGM_RSRC2:USER_SGPR: 6
; COMPUTE_PGM_RSRC2:TRAP_HANDLER: 0
; COMPUTE_PGM_RSRC2:TGID_X_EN: 1
; COMPUTE_PGM_RSRC2:TGID_Y_EN: 0
; COMPUTE_PGM_RSRC2:TGID_Z_EN: 0
; COMPUTE_PGM_RSRC2:TIDIG_COMP_CNT: 0
; COMPUTE_PGM_RSRC3_GFX90A:ACCUM_OFFSET: 13
; COMPUTE_PGM_RSRC3_GFX90A:TG_SPLIT: 0
	.section	.text._Z30block_run_length_decode_kernelIiiLj256ELj8ELj8EEvPKT_PKT0_PS0_PS3_,"axG",@progbits,_Z30block_run_length_decode_kernelIiiLj256ELj8ELj8EEvPKT_PKT0_PS0_PS3_,comdat
	.protected	_Z30block_run_length_decode_kernelIiiLj256ELj8ELj8EEvPKT_PKT0_PS0_PS3_ ; -- Begin function _Z30block_run_length_decode_kernelIiiLj256ELj8ELj8EEvPKT_PKT0_PS0_PS3_
	.globl	_Z30block_run_length_decode_kernelIiiLj256ELj8ELj8EEvPKT_PKT0_PS0_PS3_
	.p2align	8
	.type	_Z30block_run_length_decode_kernelIiiLj256ELj8ELj8EEvPKT_PKT0_PS0_PS3_,@function
_Z30block_run_length_decode_kernelIiiLj256ELj8ELj8EEvPKT_PKT0_PS0_PS3_: ; @_Z30block_run_length_decode_kernelIiiLj256ELj8ELj8EEvPKT_PKT0_PS0_PS3_
; %bb.0:
	s_load_dwordx8 s[12:19], s[4:5], 0x0
	v_lshlrev_b32_e32 v22, 3, v0
	v_lshl_or_b32 v18, s6, 11, v22
	v_mov_b32_e32 v19, 0
	v_lshlrev_b64 v[20:21], 2, v[18:19]
	s_waitcnt lgkmcnt(0)
	v_mov_b32_e32 v1, s15
	v_add_co_u32_e32 v2, vcc, s14, v20
	v_addc_co_u32_e32 v3, vcc, v1, v21, vcc
	global_load_dwordx4 v[14:17], v[2:3], off
	global_load_dwordx4 v[10:13], v[2:3], off offset:16
	v_mov_b32_e32 v1, s13
	v_add_co_u32_e32 v24, vcc, s12, v20
	v_addc_co_u32_e32 v25, vcc, v1, v21, vcc
	global_load_dwordx4 v[2:5], v[24:25], off offset:16
	global_load_dwordx4 v[6:9], v[24:25], off
	v_mbcnt_lo_u32_b32 v1, -1, 0
	v_mbcnt_hi_u32_b32 v1, -1, v1
	v_and_b32_e32 v24, 15, v1
	v_cmp_ne_u32_e32 vcc, 0, v24
	v_bfe_i32 v25, v1, 4, 1
	v_or_b32_e32 v23, 63, v0
	v_lshrrev_b32_e32 v19, 6, v0
	s_waitcnt vmcnt(3)
	v_add_u32_e32 v26, v15, v14
	v_add3_u32 v26, v26, v16, v17
	s_waitcnt vmcnt(2)
	v_add3_u32 v26, v26, v10, v11
	v_add3_u32 v13, v26, v12, v13
	s_nop 1
	v_mov_b32_dpp v26, v13 row_shr:1 row_mask:0xf bank_mask:0xf
	v_cndmask_b32_e32 v26, 0, v26, vcc
	v_add_u32_e32 v13, v26, v13
	v_cmp_lt_u32_e32 vcc, 1, v24
	s_nop 0
	v_mov_b32_dpp v26, v13 row_shr:2 row_mask:0xf bank_mask:0xf
	v_cndmask_b32_e32 v26, 0, v26, vcc
	v_add_u32_e32 v13, v13, v26
	v_cmp_lt_u32_e32 vcc, 3, v24
	;; [unrolled: 5-line block ×4, first 2 shown]
	s_nop 0
	v_mov_b32_dpp v24, v13 row_bcast:15 row_mask:0xf bank_mask:0xf
	v_and_b32_e32 v24, v25, v24
	v_add_u32_e32 v13, v13, v24
	s_nop 1
	v_mov_b32_dpp v24, v13 row_bcast:31 row_mask:0xf bank_mask:0xf
	v_cndmask_b32_e32 v24, 0, v24, vcc
	v_add_u32_e32 v13, v13, v24
	v_cmp_eq_u32_e32 vcc, v23, v0
	s_and_saveexec_b64 s[0:1], vcc
	s_cbranch_execz .LBB17_2
; %bb.1:
	v_lshlrev_b32_e32 v23, 2, v19
	ds_write_b32 v23, v13
.LBB17_2:
	s_or_b64 exec, exec, s[0:1]
	v_cmp_gt_u32_e32 vcc, 4, v0
	s_waitcnt lgkmcnt(0)
	s_barrier
	s_and_saveexec_b64 s[0:1], vcc
	s_cbranch_execz .LBB17_4
; %bb.3:
	v_lshlrev_b32_e32 v23, 2, v0
	ds_read_b32 v24, v23
	v_and_b32_e32 v25, 3, v1
	v_cmp_ne_u32_e32 vcc, 0, v25
	s_waitcnt lgkmcnt(0)
	v_mov_b32_dpp v26, v24 row_shr:1 row_mask:0xf bank_mask:0xf
	v_cndmask_b32_e32 v26, 0, v26, vcc
	v_add_u32_e32 v24, v26, v24
	v_cmp_lt_u32_e32 vcc, 1, v25
	s_nop 0
	v_mov_b32_dpp v26, v24 row_shr:2 row_mask:0xf bank_mask:0xf
	v_cndmask_b32_e32 v25, 0, v26, vcc
	v_add_u32_e32 v24, v24, v25
	ds_write_b32 v23, v24
.LBB17_4:
	s_or_b64 exec, exec, s[0:1]
	v_cmp_lt_u32_e32 vcc, 63, v0
	v_mov_b32_e32 v23, 0
	v_mov_b32_e32 v24, 0
	s_waitcnt lgkmcnt(0)
	s_barrier
	s_and_saveexec_b64 s[0:1], vcc
	s_cbranch_execz .LBB17_6
; %bb.5:
	v_lshl_add_u32 v19, v19, 2, -4
	ds_read_b32 v24, v19
.LBB17_6:
	s_or_b64 exec, exec, s[0:1]
	v_add_u32_e32 v19, -1, v1
	v_and_b32_e32 v25, 64, v1
	v_cmp_lt_i32_e32 vcc, v19, v25
	v_cndmask_b32_e32 v19, v19, v1, vcc
	s_waitcnt lgkmcnt(0)
	v_add_u32_e32 v13, v24, v13
	v_lshlrev_b32_e32 v19, 2, v19
	ds_bpermute_b32 v13, v19, v13
	v_cmp_eq_u32_e32 vcc, 0, v1
	s_mov_b32 s20, 0
	s_waitcnt lgkmcnt(0)
	v_cndmask_b32_e32 v1, v13, v24, vcc
	v_cmp_ne_u32_e32 vcc, 0, v0
	v_cndmask_b32_e32 v0, 0, v1, vcc
	v_add_u32_e32 v1, v0, v14
	v_add_u32_e32 v13, v1, v15
	ds_read_b32 v15, v23 offset:12
	v_add_u32_e32 v14, v13, v16
	v_add_u32_e32 v16, v14, v17
	v_lshlrev_b32_e32 v17, 2, v22
	v_add_u32_e32 v10, v16, v10
	s_waitcnt lgkmcnt(0)
	s_barrier
	v_or_b32_e32 v19, 0x2000, v17
	s_waitcnt vmcnt(0)
	ds_write2_b32 v17, v6, v7 offset1:1
	ds_write2_b32 v19, v0, v1 offset1:1
	v_add_u32_e32 v0, 0x2008, v17
	v_cmp_eq_u32_e32 vcc, 0, v15
	v_add_u32_e32 v11, v10, v11
	v_readfirstlane_b32 s21, v15
	ds_write2_b32 v17, v8, v9 offset0:2 offset1:3
	ds_write2_b32 v0, v13, v14 offset1:1
	v_add_u32_e32 v0, 0x2010, v17
	s_and_b64 vcc, exec, vcc
	v_add_u32_e32 v12, v11, v12
	ds_write2_b32 v17, v2, v3 offset0:4 offset1:5
	ds_write2_b32 v0, v16, v10 offset1:1
	v_add_u32_e32 v0, 0x2018, v17
	ds_write2_b32 v17, v4, v5 offset0:6 offset1:7
	ds_write2_b32 v0, v11, v12 offset1:1
	s_waitcnt lgkmcnt(0)
	s_barrier
	s_cbranch_vccnz .LBB17_55
; %bb.7:
	v_mov_b32_e32 v0, 0
	ds_read_b32 v4, v0 offset:12288
	v_or_b32_e32 v5, 1, v18
	v_or_b32_e32 v6, 2, v18
	;; [unrolled: 1-line block ×7, first 2 shown]
	v_mov_b32_e32 v12, 0x401
	v_mov_b32_e32 v13, 0x800
	v_mov_b32_e32 v14, 0x400
	v_mov_b32_e32 v15, 0x600
	v_mov_b32_e32 v16, 0x200
	s_mov_b32 s22, s21
	s_branch .LBB17_9
.LBB17_8:                               ;   in Loop: Header=BB17_9 Depth=1
	s_or_b64 exec, exec, s[0:1]
	s_addk_i32 s20, 0x800
	s_addk_i32 s22, 0xf800
	s_add_u32 s18, s18, 0x2000
	s_addc_u32 s19, s19, 0
	s_add_u32 s16, s16, 0x2000
	s_addc_u32 s17, s17, 0
	s_cmp_lt_u32 s20, s21
	s_cbranch_scc0 .LBB17_55
.LBB17_9:                               ; =>This Inner Loop Header: Depth=1
	v_add_u32_e32 v2, s20, v22
	s_waitcnt lgkmcnt(0)
	v_cmp_gt_u32_e32 vcc, v4, v2
	v_cndmask_b32_e32 v1, v15, v16, vcc
	v_lshlrev_b32_e32 v3, 2, v1
	ds_read_b32 v3, v3 offset:8192
	v_cndmask_b32_e64 v0, v12, 0, vcc
	v_cndmask_b32_e32 v17, v13, v14, vcc
	v_or_b32_e32 v19, 1, v1
	s_waitcnt lgkmcnt(0)
	v_cmp_gt_u32_e32 vcc, v3, v2
	v_cndmask_b32_e32 v0, v19, v0, vcc
	v_cndmask_b32_e32 v1, v17, v1, vcc
	v_sub_u32_e32 v3, v1, v0
	v_lshrrev_b16_e32 v17, 15, v3
	v_add_u16_e32 v3, v3, v17
	v_ashrrev_i16_e32 v3, 1, v3
	v_add_u32_sdwa v3, v0, sext(v3) dst_sel:DWORD dst_unused:UNUSED_PAD src0_sel:DWORD src1_sel:WORD_0
	v_min_i32_e32 v3, 0x7ff, v3
	v_lshlrev_b32_e32 v17, 2, v3
	ds_read_b32 v17, v17 offset:8192
	v_add_u32_e32 v19, 1, v3
	s_waitcnt lgkmcnt(0)
	v_cmp_gt_u32_e32 vcc, v17, v2
	v_cndmask_b32_e32 v0, v19, v0, vcc
	v_cndmask_b32_e32 v1, v1, v3, vcc
	v_sub_u32_e32 v3, v1, v0
	v_lshrrev_b16_e32 v17, 15, v3
	v_add_u16_e32 v3, v3, v17
	v_ashrrev_i16_e32 v3, 1, v3
	v_add_u32_sdwa v3, v0, sext(v3) dst_sel:DWORD dst_unused:UNUSED_PAD src0_sel:DWORD src1_sel:WORD_0
	v_min_i32_e32 v3, 0x7ff, v3
	v_lshlrev_b32_e32 v17, 2, v3
	ds_read_b32 v17, v17 offset:8192
	v_add_u32_e32 v19, 1, v3
	;; [unrolled: 13-line block ×8, first 2 shown]
	s_waitcnt lgkmcnt(0)
	v_cmp_gt_u32_e32 vcc, v17, v2
	v_cndmask_b32_e32 v0, v19, v0, vcc
	v_cndmask_b32_e32 v1, v1, v3, vcc
	v_sub_u32_e32 v3, v1, v0
	v_lshrrev_b32_e32 v17, 31, v3
	v_add_u32_e32 v3, v3, v17
	v_ashrrev_i32_e32 v3, 1, v3
	v_add_u32_e32 v3, v3, v0
	v_min_i32_e32 v3, 0x7ff, v3
	v_lshlrev_b32_e32 v17, 2, v3
	ds_read_b32 v17, v17 offset:8192
	v_add_u32_e32 v19, 1, v3
	s_waitcnt lgkmcnt(0)
	v_cmp_gt_u32_e32 vcc, v17, v2
	v_cndmask_b32_e32 v0, v19, v0, vcc
	v_cndmask_b32_e32 v1, v1, v3, vcc
	v_sub_u32_e32 v1, v1, v0
	v_lshrrev_b32_e32 v3, 31, v1
	v_add_u32_e32 v1, v1, v3
	v_ashrrev_i32_e32 v1, 1, v1
	v_add_u32_e32 v1, v1, v0
	v_min_i32_e32 v1, 0x7ff, v1
	v_lshlrev_b32_e32 v3, 2, v1
	ds_read_b32 v3, v3 offset:8192
	v_add_u32_e32 v1, 1, v1
	s_waitcnt lgkmcnt(0)
	v_cmp_gt_u32_e32 vcc, v3, v2
	v_cndmask_b32_e32 v3, v1, v0, vcc
	v_lshlrev_b32_e32 v23, 2, v3
	v_add_u32_e32 v0, 0x1ffc, v23
	ds_read2_b32 v[0:1], v0 offset1:1
	v_add_u32_e32 v17, -4, v23
	ds_read_b32 v27, v17
	v_add_u32_e32 v17, 1, v2
	s_waitcnt lgkmcnt(1)
	v_sub_u32_e32 v19, v2, v0
	v_cmp_eq_u32_e32 vcc, v17, v1
	v_mov_b32_e32 v17, v19
	s_waitcnt lgkmcnt(0)
	v_mov_b32_e32 v28, v27
	s_and_saveexec_b64 s[0:1], vcc
	s_cbranch_execz .LBB17_11
; %bb.10:                               ;   in Loop: Header=BB17_9 Depth=1
	ds_read_b32 v0, v23 offset:8196
	ds_read_b32 v28, v23
	v_add_u32_e32 v3, 1, v3
	v_sub_u32_e32 v17, v2, v1
	s_waitcnt lgkmcnt(1)
	v_mov_b32_e32 v1, v0
.LBB17_11:                              ;   in Loop: Header=BB17_9 Depth=1
	s_or_b64 exec, exec, s[0:1]
	v_add_u32_e32 v0, 2, v2
	v_cmp_eq_u32_e32 vcc, v0, v1
	v_mov_b32_e32 v23, v17
	s_waitcnt lgkmcnt(0)
	v_mov_b32_e32 v30, v28
	s_and_saveexec_b64 s[0:1], vcc
	s_cbranch_execz .LBB17_13
; %bb.12:                               ;   in Loop: Header=BB17_9 Depth=1
	v_lshlrev_b32_e32 v0, 2, v3
	ds_read_b32 v24, v0 offset:8196
	ds_read_b32 v30, v0
	v_add_u32_e32 v3, 1, v3
	v_sub_u32_e32 v23, v2, v1
	s_waitcnt lgkmcnt(1)
	v_mov_b32_e32 v1, v24
.LBB17_13:                              ;   in Loop: Header=BB17_9 Depth=1
	s_or_b64 exec, exec, s[0:1]
	v_add_u32_e32 v0, 3, v2
	v_cmp_eq_u32_e32 vcc, v0, v1
	v_mov_b32_e32 v24, v23
	s_waitcnt lgkmcnt(0)
	v_mov_b32_e32 v32, v30
	s_and_saveexec_b64 s[0:1], vcc
	s_cbranch_execz .LBB17_15
; %bb.14:                               ;   in Loop: Header=BB17_9 Depth=1
	v_lshlrev_b32_e32 v24, 2, v3
	v_add_u32_e32 v0, 0x2000, v24
	ds_read2_b32 v[0:1], v0 offset1:1
	ds_read_b32 v32, v24
	v_add_u32_e32 v3, 1, v3
	s_waitcnt lgkmcnt(1)
	v_sub_u32_e32 v24, v2, v0
.LBB17_15:                              ;   in Loop: Header=BB17_9 Depth=1
	s_or_b64 exec, exec, s[0:1]
	v_add_u32_e32 v0, 4, v2
	v_cmp_eq_u32_e32 vcc, v0, v1
	v_mov_b32_e32 v25, v24
	s_waitcnt lgkmcnt(0)
	v_mov_b32_e32 v33, v32
	s_and_saveexec_b64 s[0:1], vcc
	s_cbranch_execz .LBB17_17
; %bb.16:                               ;   in Loop: Header=BB17_9 Depth=1
	v_lshlrev_b32_e32 v25, 2, v3
	v_add_u32_e32 v0, 0x2000, v25
	ds_read2_b32 v[0:1], v0 offset1:1
	ds_read_b32 v33, v25
	v_add_u32_e32 v3, 1, v3
	s_waitcnt lgkmcnt(1)
	v_sub_u32_e32 v25, v2, v0
.LBB17_17:                              ;   in Loop: Header=BB17_9 Depth=1
	;; [unrolled: 17-line block ×4, first 2 shown]
	s_or_b64 exec, exec, s[0:1]
	v_add_u32_e32 v0, 7, v2
	v_cmp_eq_u32_e32 vcc, v0, v1
	v_mov_b32_e32 v31, v29
	s_waitcnt lgkmcnt(0)
	v_mov_b32_e32 v0, v35
	s_and_saveexec_b64 s[0:1], vcc
	s_cbranch_execz .LBB17_23
; %bb.22:                               ;   in Loop: Header=BB17_9 Depth=1
	v_lshlrev_b32_e32 v0, 2, v3
	ds_read2st64_b32 v[0:1], v0 offset1:32
	s_waitcnt lgkmcnt(0)
	v_sub_u32_e32 v31, v2, v1
.LBB17_23:                              ;   in Loop: Header=BB17_9 Depth=1
	s_or_b64 exec, exec, s[0:1]
	v_mov_b32_e32 v1, s17
	v_add_co_u32_e32 v2, vcc, s16, v20
	s_min_u32 s14, s22, 0x800
	v_addc_co_u32_e32 v3, vcc, v1, v21, vcc
	v_cmp_gt_u32_e32 vcc, s14, v18
	s_and_saveexec_b64 s[0:1], vcc
	s_cbranch_execnz .LBB17_40
; %bb.24:                               ;   in Loop: Header=BB17_9 Depth=1
	s_or_b64 exec, exec, s[0:1]
	v_cmp_gt_u32_e64 s[0:1], s14, v5
	s_and_saveexec_b64 s[2:3], s[0:1]
	s_cbranch_execnz .LBB17_41
.LBB17_25:                              ;   in Loop: Header=BB17_9 Depth=1
	s_or_b64 exec, exec, s[2:3]
	v_cmp_gt_u32_e64 s[2:3], s14, v6
	s_and_saveexec_b64 s[4:5], s[2:3]
	s_cbranch_execnz .LBB17_42
.LBB17_26:                              ;   in Loop: Header=BB17_9 Depth=1
	s_or_b64 exec, exec, s[4:5]
	v_cmp_gt_u32_e64 s[4:5], s14, v7
	s_and_saveexec_b64 s[6:7], s[4:5]
	s_cbranch_execnz .LBB17_43
.LBB17_27:                              ;   in Loop: Header=BB17_9 Depth=1
	s_or_b64 exec, exec, s[6:7]
	v_cmp_gt_u32_e64 s[6:7], s14, v8
	s_and_saveexec_b64 s[8:9], s[6:7]
	s_cbranch_execnz .LBB17_44
.LBB17_28:                              ;   in Loop: Header=BB17_9 Depth=1
	s_or_b64 exec, exec, s[8:9]
	v_cmp_gt_u32_e64 s[8:9], s14, v9
	s_and_saveexec_b64 s[10:11], s[8:9]
	s_cbranch_execnz .LBB17_45
.LBB17_29:                              ;   in Loop: Header=BB17_9 Depth=1
	s_or_b64 exec, exec, s[10:11]
	v_cmp_gt_u32_e64 s[10:11], s14, v10
	s_and_saveexec_b64 s[12:13], s[10:11]
	s_cbranch_execnz .LBB17_46
.LBB17_30:                              ;   in Loop: Header=BB17_9 Depth=1
	s_or_b64 exec, exec, s[12:13]
	v_cmp_gt_u32_e64 s[12:13], s14, v11
	s_and_saveexec_b64 s[14:15], s[12:13]
	s_cbranch_execz .LBB17_32
.LBB17_31:                              ;   in Loop: Header=BB17_9 Depth=1
	global_store_dword v[2:3], v0, off offset:28
.LBB17_32:                              ;   in Loop: Header=BB17_9 Depth=1
	s_or_b64 exec, exec, s[14:15]
	v_mov_b32_e32 v1, s19
	v_add_co_u32_e64 v0, s[14:15], s18, v20
	v_addc_co_u32_e64 v1, s[14:15], v1, v21, s[14:15]
	s_and_saveexec_b64 s[14:15], vcc
	s_cbranch_execnz .LBB17_47
; %bb.33:                               ;   in Loop: Header=BB17_9 Depth=1
	s_or_b64 exec, exec, s[14:15]
	s_and_saveexec_b64 s[14:15], s[0:1]
	s_cbranch_execnz .LBB17_48
.LBB17_34:                              ;   in Loop: Header=BB17_9 Depth=1
	s_or_b64 exec, exec, s[14:15]
	s_and_saveexec_b64 s[0:1], s[2:3]
	s_cbranch_execnz .LBB17_49
.LBB17_35:                              ;   in Loop: Header=BB17_9 Depth=1
	s_or_b64 exec, exec, s[0:1]
	s_and_saveexec_b64 s[0:1], s[4:5]
	s_cbranch_execnz .LBB17_50
.LBB17_36:                              ;   in Loop: Header=BB17_9 Depth=1
	s_or_b64 exec, exec, s[0:1]
	s_and_saveexec_b64 s[0:1], s[6:7]
	s_cbranch_execnz .LBB17_51
.LBB17_37:                              ;   in Loop: Header=BB17_9 Depth=1
	s_or_b64 exec, exec, s[0:1]
	s_and_saveexec_b64 s[0:1], s[8:9]
	s_cbranch_execnz .LBB17_52
.LBB17_38:                              ;   in Loop: Header=BB17_9 Depth=1
	s_or_b64 exec, exec, s[0:1]
	s_and_saveexec_b64 s[0:1], s[10:11]
	s_cbranch_execnz .LBB17_53
.LBB17_39:                              ;   in Loop: Header=BB17_9 Depth=1
	s_or_b64 exec, exec, s[0:1]
	s_and_saveexec_b64 s[0:1], s[12:13]
	s_cbranch_execz .LBB17_8
	s_branch .LBB17_54
.LBB17_40:                              ;   in Loop: Header=BB17_9 Depth=1
	global_store_dword v[2:3], v27, off
	s_or_b64 exec, exec, s[0:1]
	v_cmp_gt_u32_e64 s[0:1], s14, v5
	s_and_saveexec_b64 s[2:3], s[0:1]
	s_cbranch_execz .LBB17_25
.LBB17_41:                              ;   in Loop: Header=BB17_9 Depth=1
	global_store_dword v[2:3], v28, off offset:4
	s_or_b64 exec, exec, s[2:3]
	v_cmp_gt_u32_e64 s[2:3], s14, v6
	s_and_saveexec_b64 s[4:5], s[2:3]
	s_cbranch_execz .LBB17_26
.LBB17_42:                              ;   in Loop: Header=BB17_9 Depth=1
	global_store_dword v[2:3], v30, off offset:8
	s_or_b64 exec, exec, s[4:5]
	v_cmp_gt_u32_e64 s[4:5], s14, v7
	s_and_saveexec_b64 s[6:7], s[4:5]
	s_cbranch_execz .LBB17_27
.LBB17_43:                              ;   in Loop: Header=BB17_9 Depth=1
	global_store_dword v[2:3], v32, off offset:12
	s_or_b64 exec, exec, s[6:7]
	v_cmp_gt_u32_e64 s[6:7], s14, v8
	s_and_saveexec_b64 s[8:9], s[6:7]
	s_cbranch_execz .LBB17_28
.LBB17_44:                              ;   in Loop: Header=BB17_9 Depth=1
	global_store_dword v[2:3], v33, off offset:16
	s_or_b64 exec, exec, s[8:9]
	v_cmp_gt_u32_e64 s[8:9], s14, v9
	s_and_saveexec_b64 s[10:11], s[8:9]
	s_cbranch_execz .LBB17_29
.LBB17_45:                              ;   in Loop: Header=BB17_9 Depth=1
	global_store_dword v[2:3], v34, off offset:20
	s_or_b64 exec, exec, s[10:11]
	v_cmp_gt_u32_e64 s[10:11], s14, v10
	s_and_saveexec_b64 s[12:13], s[10:11]
	s_cbranch_execz .LBB17_30
.LBB17_46:                              ;   in Loop: Header=BB17_9 Depth=1
	global_store_dword v[2:3], v35, off offset:24
	s_or_b64 exec, exec, s[12:13]
	v_cmp_gt_u32_e64 s[12:13], s14, v11
	s_and_saveexec_b64 s[14:15], s[12:13]
	s_cbranch_execnz .LBB17_31
	s_branch .LBB17_32
.LBB17_47:                              ;   in Loop: Header=BB17_9 Depth=1
	global_store_dword v[0:1], v19, off
	s_or_b64 exec, exec, s[14:15]
	s_and_saveexec_b64 s[14:15], s[0:1]
	s_cbranch_execz .LBB17_34
.LBB17_48:                              ;   in Loop: Header=BB17_9 Depth=1
	v_add_u32_e32 v2, 1, v17
	global_store_dword v[0:1], v2, off offset:4
	s_or_b64 exec, exec, s[14:15]
	s_and_saveexec_b64 s[0:1], s[2:3]
	s_cbranch_execz .LBB17_35
.LBB17_49:                              ;   in Loop: Header=BB17_9 Depth=1
	v_add_u32_e32 v2, 2, v23
	global_store_dword v[0:1], v2, off offset:8
	s_or_b64 exec, exec, s[0:1]
	s_and_saveexec_b64 s[0:1], s[4:5]
	s_cbranch_execz .LBB17_36
.LBB17_50:                              ;   in Loop: Header=BB17_9 Depth=1
	v_add_u32_e32 v2, 3, v24
	global_store_dword v[0:1], v2, off offset:12
	s_or_b64 exec, exec, s[0:1]
	s_and_saveexec_b64 s[0:1], s[6:7]
	s_cbranch_execz .LBB17_37
.LBB17_51:                              ;   in Loop: Header=BB17_9 Depth=1
	v_add_u32_e32 v2, 4, v25
	global_store_dword v[0:1], v2, off offset:16
	s_or_b64 exec, exec, s[0:1]
	s_and_saveexec_b64 s[0:1], s[8:9]
	s_cbranch_execz .LBB17_38
.LBB17_52:                              ;   in Loop: Header=BB17_9 Depth=1
	v_add_u32_e32 v2, 5, v26
	global_store_dword v[0:1], v2, off offset:20
	s_or_b64 exec, exec, s[0:1]
	s_and_saveexec_b64 s[0:1], s[10:11]
	s_cbranch_execz .LBB17_39
.LBB17_53:                              ;   in Loop: Header=BB17_9 Depth=1
	v_add_u32_e32 v2, 6, v29
	global_store_dword v[0:1], v2, off offset:24
	s_or_b64 exec, exec, s[0:1]
	s_and_saveexec_b64 s[0:1], s[12:13]
	s_cbranch_execz .LBB17_8
.LBB17_54:                              ;   in Loop: Header=BB17_9 Depth=1
	v_add_u32_e32 v2, 7, v31
	global_store_dword v[0:1], v2, off offset:28
	s_branch .LBB17_8
.LBB17_55:
	s_endpgm
	.section	.rodata,"a",@progbits
	.p2align	6, 0x0
	.amdhsa_kernel _Z30block_run_length_decode_kernelIiiLj256ELj8ELj8EEvPKT_PKT0_PS0_PS3_
		.amdhsa_group_segment_fixed_size 16384
		.amdhsa_private_segment_fixed_size 0
		.amdhsa_kernarg_size 32
		.amdhsa_user_sgpr_count 6
		.amdhsa_user_sgpr_private_segment_buffer 1
		.amdhsa_user_sgpr_dispatch_ptr 0
		.amdhsa_user_sgpr_queue_ptr 0
		.amdhsa_user_sgpr_kernarg_segment_ptr 1
		.amdhsa_user_sgpr_dispatch_id 0
		.amdhsa_user_sgpr_flat_scratch_init 0
		.amdhsa_user_sgpr_kernarg_preload_length 0
		.amdhsa_user_sgpr_kernarg_preload_offset 0
		.amdhsa_user_sgpr_private_segment_size 0
		.amdhsa_uses_dynamic_stack 0
		.amdhsa_system_sgpr_private_segment_wavefront_offset 0
		.amdhsa_system_sgpr_workgroup_id_x 1
		.amdhsa_system_sgpr_workgroup_id_y 0
		.amdhsa_system_sgpr_workgroup_id_z 0
		.amdhsa_system_sgpr_workgroup_info 0
		.amdhsa_system_vgpr_workitem_id 0
		.amdhsa_next_free_vgpr 36
		.amdhsa_next_free_sgpr 23
		.amdhsa_accum_offset 36
		.amdhsa_reserve_vcc 1
		.amdhsa_reserve_flat_scratch 0
		.amdhsa_float_round_mode_32 0
		.amdhsa_float_round_mode_16_64 0
		.amdhsa_float_denorm_mode_32 3
		.amdhsa_float_denorm_mode_16_64 3
		.amdhsa_dx10_clamp 1
		.amdhsa_ieee_mode 1
		.amdhsa_fp16_overflow 0
		.amdhsa_tg_split 0
		.amdhsa_exception_fp_ieee_invalid_op 0
		.amdhsa_exception_fp_denorm_src 0
		.amdhsa_exception_fp_ieee_div_zero 0
		.amdhsa_exception_fp_ieee_overflow 0
		.amdhsa_exception_fp_ieee_underflow 0
		.amdhsa_exception_fp_ieee_inexact 0
		.amdhsa_exception_int_div_zero 0
	.end_amdhsa_kernel
	.section	.text._Z30block_run_length_decode_kernelIiiLj256ELj8ELj8EEvPKT_PKT0_PS0_PS3_,"axG",@progbits,_Z30block_run_length_decode_kernelIiiLj256ELj8ELj8EEvPKT_PKT0_PS0_PS3_,comdat
.Lfunc_end17:
	.size	_Z30block_run_length_decode_kernelIiiLj256ELj8ELj8EEvPKT_PKT0_PS0_PS3_, .Lfunc_end17-_Z30block_run_length_decode_kernelIiiLj256ELj8ELj8EEvPKT_PKT0_PS0_PS3_
                                        ; -- End function
	.section	.AMDGPU.csdata,"",@progbits
; Kernel info:
; codeLenInByte = 2724
; NumSgprs: 27
; NumVgprs: 36
; NumAgprs: 0
; TotalNumVgprs: 36
; ScratchSize: 0
; MemoryBound: 0
; FloatMode: 240
; IeeeMode: 1
; LDSByteSize: 16384 bytes/workgroup (compile time only)
; SGPRBlocks: 3
; VGPRBlocks: 4
; NumSGPRsForWavesPerEU: 27
; NumVGPRsForWavesPerEU: 36
; AccumOffset: 36
; Occupancy: 4
; WaveLimiterHint : 0
; COMPUTE_PGM_RSRC2:SCRATCH_EN: 0
; COMPUTE_PGM_RSRC2:USER_SGPR: 6
; COMPUTE_PGM_RSRC2:TRAP_HANDLER: 0
; COMPUTE_PGM_RSRC2:TGID_X_EN: 1
; COMPUTE_PGM_RSRC2:TGID_Y_EN: 0
; COMPUTE_PGM_RSRC2:TGID_Z_EN: 0
; COMPUTE_PGM_RSRC2:TIDIG_COMP_CNT: 0
; COMPUTE_PGM_RSRC3_GFX90A:ACCUM_OFFSET: 8
; COMPUTE_PGM_RSRC3_GFX90A:TG_SPLIT: 0
	.section	.text._Z30block_run_length_decode_kernelI12hip_bfloat16iLj256ELj4ELj4EEvPKT_PKT0_PS1_PS4_,"axG",@progbits,_Z30block_run_length_decode_kernelI12hip_bfloat16iLj256ELj4ELj4EEvPKT_PKT0_PS1_PS4_,comdat
	.protected	_Z30block_run_length_decode_kernelI12hip_bfloat16iLj256ELj4ELj4EEvPKT_PKT0_PS1_PS4_ ; -- Begin function _Z30block_run_length_decode_kernelI12hip_bfloat16iLj256ELj4ELj4EEvPKT_PKT0_PS1_PS4_
	.globl	_Z30block_run_length_decode_kernelI12hip_bfloat16iLj256ELj4ELj4EEvPKT_PKT0_PS1_PS4_
	.p2align	8
	.type	_Z30block_run_length_decode_kernelI12hip_bfloat16iLj256ELj4ELj4EEvPKT_PKT0_PS1_PS4_,@function
_Z30block_run_length_decode_kernelI12hip_bfloat16iLj256ELj4ELj4EEvPKT_PKT0_PS1_PS4_: ; @_Z30block_run_length_decode_kernelI12hip_bfloat16iLj256ELj4ELj4EEvPKT_PKT0_PS1_PS4_
; %bb.0:
	s_load_dwordx8 s[8:15], s[4:5], 0x0
	v_lshlrev_b32_e32 v14, 2, v0
	v_lshl_or_b32 v6, s6, 10, v14
	v_mov_b32_e32 v7, 0
	v_lshlrev_b64 v[10:11], 2, v[6:7]
	s_waitcnt lgkmcnt(0)
	v_mov_b32_e32 v1, s11
	v_add_co_u32_e32 v2, vcc, s10, v10
	v_addc_co_u32_e32 v3, vcc, v1, v11, vcc
	global_load_dwordx4 v[2:5], v[2:3], off
	v_lshlrev_b64 v[8:9], 1, v[6:7]
	v_mov_b32_e32 v1, s9
	v_add_co_u32_e32 v12, vcc, s8, v8
	v_addc_co_u32_e32 v13, vcc, v1, v9, vcc
	global_load_dwordx2 v[12:13], v[12:13], off
	v_mbcnt_lo_u32_b32 v1, -1, 0
	v_mbcnt_hi_u32_b32 v1, -1, v1
	v_and_b32_e32 v16, 15, v1
	v_cmp_ne_u32_e32 vcc, 0, v16
	v_bfe_i32 v17, v1, 4, 1
	v_or_b32_e32 v15, 63, v0
	v_lshrrev_b32_e32 v7, 6, v0
	s_waitcnt vmcnt(1)
	v_add_u32_e32 v18, v3, v2
	v_add3_u32 v5, v18, v4, v5
	s_nop 1
	v_mov_b32_dpp v18, v5 row_shr:1 row_mask:0xf bank_mask:0xf
	v_cndmask_b32_e32 v18, 0, v18, vcc
	v_add_u32_e32 v5, v18, v5
	v_cmp_lt_u32_e32 vcc, 1, v16
	s_nop 0
	v_mov_b32_dpp v18, v5 row_shr:2 row_mask:0xf bank_mask:0xf
	v_cndmask_b32_e32 v18, 0, v18, vcc
	v_add_u32_e32 v5, v5, v18
	v_cmp_lt_u32_e32 vcc, 3, v16
	;; [unrolled: 5-line block ×4, first 2 shown]
	s_nop 0
	v_mov_b32_dpp v16, v5 row_bcast:15 row_mask:0xf bank_mask:0xf
	v_and_b32_e32 v16, v17, v16
	v_add_u32_e32 v5, v5, v16
	s_nop 1
	v_mov_b32_dpp v16, v5 row_bcast:31 row_mask:0xf bank_mask:0xf
	v_cndmask_b32_e32 v16, 0, v16, vcc
	v_add_u32_e32 v5, v5, v16
	v_cmp_eq_u32_e32 vcc, v15, v0
	s_and_saveexec_b64 s[0:1], vcc
	s_cbranch_execz .LBB18_2
; %bb.1:
	v_lshlrev_b32_e32 v15, 2, v7
	ds_write_b32 v15, v5
.LBB18_2:
	s_or_b64 exec, exec, s[0:1]
	v_cmp_gt_u32_e32 vcc, 4, v0
	s_waitcnt lgkmcnt(0)
	s_barrier
	s_and_saveexec_b64 s[0:1], vcc
	s_cbranch_execz .LBB18_4
; %bb.3:
	ds_read_b32 v15, v14
	v_and_b32_e32 v16, 3, v1
	v_cmp_ne_u32_e32 vcc, 0, v16
	s_waitcnt lgkmcnt(0)
	v_mov_b32_dpp v17, v15 row_shr:1 row_mask:0xf bank_mask:0xf
	v_cndmask_b32_e32 v17, 0, v17, vcc
	v_add_u32_e32 v15, v17, v15
	v_cmp_lt_u32_e32 vcc, 1, v16
	s_nop 0
	v_mov_b32_dpp v17, v15 row_shr:2 row_mask:0xf bank_mask:0xf
	v_cndmask_b32_e32 v16, 0, v17, vcc
	v_add_u32_e32 v15, v15, v16
	ds_write_b32 v14, v15
.LBB18_4:
	s_or_b64 exec, exec, s[0:1]
	v_cmp_lt_u32_e32 vcc, 63, v0
	v_mov_b32_e32 v15, 0
	v_mov_b32_e32 v16, 0
	s_waitcnt lgkmcnt(0)
	s_barrier
	s_and_saveexec_b64 s[0:1], vcc
	s_cbranch_execz .LBB18_6
; %bb.5:
	v_lshl_add_u32 v7, v7, 2, -4
	ds_read_b32 v16, v7
.LBB18_6:
	s_or_b64 exec, exec, s[0:1]
	v_add_u32_e32 v7, -1, v1
	v_and_b32_e32 v17, 64, v1
	v_cmp_lt_i32_e32 vcc, v7, v17
	v_cndmask_b32_e32 v7, v7, v1, vcc
	s_waitcnt lgkmcnt(0)
	v_add_u32_e32 v5, v16, v5
	v_lshlrev_b32_e32 v7, 2, v7
	ds_bpermute_b32 v5, v7, v5
	v_cmp_eq_u32_e32 vcc, 0, v1
	v_lshlrev_b32_e32 v7, 2, v14
	s_mov_b32 s8, 0
	s_waitcnt lgkmcnt(0)
	v_cndmask_b32_e32 v1, v5, v16, vcc
	ds_read_b32 v5, v15 offset:12
	v_cmp_ne_u32_e32 vcc, 0, v0
	v_cndmask_b32_e32 v0, 0, v1, vcc
	v_add_u32_e32 v1, v0, v2
	v_add_u32_e32 v2, v1, v3
	s_waitcnt lgkmcnt(0)
	v_cmp_eq_u32_e32 vcc, 0, v5
	v_add_u32_e32 v3, v2, v4
	v_readfirstlane_b32 s9, v5
	v_lshlrev_b32_e32 v4, 1, v14
	v_add_u32_e32 v15, 0x800, v7
	s_and_b64 vcc, exec, vcc
	s_barrier
	ds_write2_b32 v15, v0, v1 offset1:1
	v_add_u32_e32 v0, 0x808, v7
	s_waitcnt vmcnt(0)
	ds_write_b64 v4, v[12:13]
	ds_write2_b32 v0, v2, v3 offset1:1
	s_waitcnt lgkmcnt(0)
	s_barrier
	s_cbranch_vccnz .LBB18_31
; %bb.7:
	v_mov_b32_e32 v0, 0
	ds_read_b32 v7, v0 offset:4096
	v_mov_b32_e32 v0, s15
	v_add_co_u32_e32 v1, vcc, s14, v10
	v_addc_co_u32_e32 v2, vcc, v11, v0, vcc
	v_add_co_u32_e32 v0, vcc, 12, v1
	v_addc_co_u32_e32 v1, vcc, 0, v2, vcc
	v_mov_b32_e32 v2, s13
	v_add_co_u32_e32 v3, vcc, s12, v8
	v_addc_co_u32_e32 v4, vcc, v9, v2, vcc
	v_add_co_u32_e32 v2, vcc, 4, v3
	v_or_b32_e32 v12, 1, v6
	v_or_b32_e32 v13, 2, v6
	;; [unrolled: 1-line block ×3, first 2 shown]
	v_addc_co_u32_e32 v3, vcc, 0, v4, vcc
	v_mov_b32_e32 v8, 0x201
	v_mov_b32_e32 v9, 0x400
	;; [unrolled: 1-line block ×5, first 2 shown]
	s_mov_b32 s10, s9
	s_branch .LBB18_9
.LBB18_8:                               ;   in Loop: Header=BB18_9 Depth=1
	s_or_b64 exec, exec, s[0:1]
	v_add_co_u32_e32 v0, vcc, 0x1000, v0
	v_addc_co_u32_e32 v1, vcc, 0, v1, vcc
	s_addk_i32 s8, 0x400
	s_addk_i32 s10, 0xfc00
	v_add_co_u32_e32 v2, vcc, 0x800, v2
	s_cmp_lt_u32 s8, s9
	v_addc_co_u32_e32 v3, vcc, 0, v3, vcc
	s_cbranch_scc0 .LBB18_31
.LBB18_9:                               ; =>This Inner Loop Header: Depth=1
	v_add_u32_e32 v17, s8, v14
	s_waitcnt lgkmcnt(0)
	v_cmp_gt_u32_e32 vcc, v7, v17
	v_cndmask_b32_e32 v5, v11, v16, vcc
	v_lshlrev_b32_e32 v18, 2, v5
	ds_read_b32 v18, v18 offset:2048
	v_cndmask_b32_e64 v4, v8, 0, vcc
	v_cndmask_b32_e32 v19, v9, v10, vcc
	v_or_b32_e32 v20, 1, v5
	s_waitcnt lgkmcnt(0)
	v_cmp_gt_u32_e32 vcc, v18, v17
	v_cndmask_b32_e32 v4, v20, v4, vcc
	v_cndmask_b32_e32 v5, v19, v5, vcc
	v_sub_u32_e32 v18, v5, v4
	v_lshrrev_b16_e32 v19, 15, v18
	v_add_u16_e32 v18, v18, v19
	v_ashrrev_i16_e32 v18, 1, v18
	v_add_u32_sdwa v18, v4, sext(v18) dst_sel:DWORD dst_unused:UNUSED_PAD src0_sel:DWORD src1_sel:WORD_0
	v_min_i32_e32 v18, 0x3ff, v18
	v_lshlrev_b32_e32 v19, 2, v18
	ds_read_b32 v19, v19 offset:2048
	v_add_u32_e32 v20, 1, v18
	s_waitcnt lgkmcnt(0)
	v_cmp_gt_u32_e32 vcc, v19, v17
	v_cndmask_b32_e32 v4, v20, v4, vcc
	v_cndmask_b32_e32 v5, v5, v18, vcc
	v_sub_u32_e32 v18, v5, v4
	v_lshrrev_b16_e32 v19, 15, v18
	v_add_u16_e32 v18, v18, v19
	v_ashrrev_i16_e32 v18, 1, v18
	v_add_u32_sdwa v18, v4, sext(v18) dst_sel:DWORD dst_unused:UNUSED_PAD src0_sel:DWORD src1_sel:WORD_0
	v_min_i32_e32 v18, 0x3ff, v18
	v_lshlrev_b32_e32 v19, 2, v18
	ds_read_b32 v19, v19 offset:2048
	v_add_u32_e32 v20, 1, v18
	;; [unrolled: 13-line block ×9, first 2 shown]
	s_waitcnt lgkmcnt(0)
	v_cmp_gt_u32_e32 vcc, v18, v17
	v_cndmask_b32_e32 v22, v5, v4, vcc
	v_lshlrev_b32_e32 v19, 2, v22
	v_add_u32_e32 v4, 0x7fc, v19
	ds_read2_b32 v[4:5], v4 offset1:1
	v_lshl_add_u32 v18, v22, 1, -2
	ds_read_u16 v20, v18
	v_add_u32_e32 v18, 1, v17
	s_waitcnt lgkmcnt(1)
	v_sub_u32_e32 v4, v17, v4
	v_cmp_eq_u32_e32 vcc, v18, v5
	v_mov_b32_e32 v18, v4
	s_waitcnt lgkmcnt(0)
	v_mov_b32_e32 v21, v20
	s_and_saveexec_b64 s[0:1], vcc
	s_cbranch_execz .LBB18_11
; %bb.10:                               ;   in Loop: Header=BB18_9 Depth=1
	v_lshlrev_b32_e32 v18, 1, v22
	ds_read_b32 v19, v19 offset:2052
	ds_read_u16 v21, v18
	v_add_u32_e32 v22, 1, v22
	v_sub_u32_e32 v18, v17, v5
	s_waitcnt lgkmcnt(1)
	v_mov_b32_e32 v5, v19
.LBB18_11:                              ;   in Loop: Header=BB18_9 Depth=1
	s_or_b64 exec, exec, s[0:1]
	v_add_u32_e32 v19, 2, v17
	v_cmp_eq_u32_e32 vcc, v19, v5
	v_mov_b32_e32 v19, v18
	s_waitcnt lgkmcnt(0)
	v_mov_b32_e32 v23, v21
	s_and_saveexec_b64 s[0:1], vcc
	s_cbranch_execz .LBB18_13
; %bb.12:                               ;   in Loop: Header=BB18_9 Depth=1
	v_lshlrev_b32_e32 v19, 1, v22
	v_add_u32_e32 v22, 1, v22
	v_lshlrev_b32_e32 v23, 2, v22
	ds_read_b32 v24, v23 offset:2048
	ds_read_u16 v23, v19
	v_sub_u32_e32 v19, v17, v5
	s_waitcnt lgkmcnt(1)
	v_mov_b32_e32 v5, v24
.LBB18_13:                              ;   in Loop: Header=BB18_9 Depth=1
	s_or_b64 exec, exec, s[0:1]
	v_add_u32_e32 v24, 3, v17
	v_cmp_eq_u32_e32 vcc, v24, v5
	v_mov_b32_e32 v5, v19
	s_waitcnt lgkmcnt(0)
	v_mov_b32_e32 v24, v23
	s_and_saveexec_b64 s[0:1], vcc
	s_cbranch_execz .LBB18_15
; %bb.14:                               ;   in Loop: Header=BB18_9 Depth=1
	v_lshlrev_b32_e32 v5, 1, v22
	v_lshlrev_b32_e32 v22, 2, v22
	ds_read_b32 v22, v22 offset:2048
	ds_read_u16 v24, v5
	s_waitcnt lgkmcnt(1)
	v_sub_u32_e32 v5, v17, v22
.LBB18_15:                              ;   in Loop: Header=BB18_9 Depth=1
	s_or_b64 exec, exec, s[0:1]
	s_min_u32 s6, s10, 0x400
	v_cmp_gt_u32_e32 vcc, s6, v6
	s_and_saveexec_b64 s[0:1], vcc
	s_cbranch_execnz .LBB18_23
; %bb.16:                               ;   in Loop: Header=BB18_9 Depth=1
	s_or_b64 exec, exec, s[0:1]
	v_cmp_gt_u32_e64 s[0:1], s6, v12
	s_and_saveexec_b64 s[2:3], s[0:1]
	s_cbranch_execnz .LBB18_24
.LBB18_17:                              ;   in Loop: Header=BB18_9 Depth=1
	s_or_b64 exec, exec, s[2:3]
	v_cmp_gt_u32_e64 s[2:3], s6, v13
	s_and_saveexec_b64 s[4:5], s[2:3]
	s_cbranch_execnz .LBB18_25
.LBB18_18:                              ;   in Loop: Header=BB18_9 Depth=1
	s_or_b64 exec, exec, s[4:5]
	v_cmp_gt_u32_e64 s[4:5], s6, v15
	s_and_saveexec_b64 s[6:7], s[4:5]
	s_cbranch_execnz .LBB18_26
.LBB18_19:                              ;   in Loop: Header=BB18_9 Depth=1
	s_or_b64 exec, exec, s[6:7]
	s_and_saveexec_b64 s[6:7], vcc
	s_cbranch_execnz .LBB18_27
.LBB18_20:                              ;   in Loop: Header=BB18_9 Depth=1
	s_or_b64 exec, exec, s[6:7]
	s_and_saveexec_b64 s[6:7], s[0:1]
	s_cbranch_execnz .LBB18_28
.LBB18_21:                              ;   in Loop: Header=BB18_9 Depth=1
	s_or_b64 exec, exec, s[6:7]
	s_and_saveexec_b64 s[0:1], s[2:3]
	s_cbranch_execnz .LBB18_29
.LBB18_22:                              ;   in Loop: Header=BB18_9 Depth=1
	s_or_b64 exec, exec, s[0:1]
	s_and_saveexec_b64 s[0:1], s[4:5]
	s_cbranch_execz .LBB18_8
	s_branch .LBB18_30
.LBB18_23:                              ;   in Loop: Header=BB18_9 Depth=1
	global_store_short v[2:3], v20, off offset:-4
	s_or_b64 exec, exec, s[0:1]
	v_cmp_gt_u32_e64 s[0:1], s6, v12
	s_and_saveexec_b64 s[2:3], s[0:1]
	s_cbranch_execz .LBB18_17
.LBB18_24:                              ;   in Loop: Header=BB18_9 Depth=1
	global_store_short v[2:3], v21, off offset:-2
	s_or_b64 exec, exec, s[2:3]
	v_cmp_gt_u32_e64 s[2:3], s6, v13
	s_and_saveexec_b64 s[4:5], s[2:3]
	s_cbranch_execz .LBB18_18
.LBB18_25:                              ;   in Loop: Header=BB18_9 Depth=1
	global_store_short v[2:3], v23, off
	s_or_b64 exec, exec, s[4:5]
	v_cmp_gt_u32_e64 s[4:5], s6, v15
	s_and_saveexec_b64 s[6:7], s[4:5]
	s_cbranch_execz .LBB18_19
.LBB18_26:                              ;   in Loop: Header=BB18_9 Depth=1
	s_waitcnt lgkmcnt(0)
	global_store_short v[2:3], v24, off offset:2
	s_or_b64 exec, exec, s[6:7]
	s_and_saveexec_b64 s[6:7], vcc
	s_cbranch_execz .LBB18_20
.LBB18_27:                              ;   in Loop: Header=BB18_9 Depth=1
	global_store_dword v[0:1], v4, off offset:-12
	s_or_b64 exec, exec, s[6:7]
	s_and_saveexec_b64 s[6:7], s[0:1]
	s_cbranch_execz .LBB18_21
.LBB18_28:                              ;   in Loop: Header=BB18_9 Depth=1
	v_add_u32_e32 v4, 1, v18
	global_store_dword v[0:1], v4, off offset:-8
	s_or_b64 exec, exec, s[6:7]
	s_and_saveexec_b64 s[0:1], s[2:3]
	s_cbranch_execz .LBB18_22
.LBB18_29:                              ;   in Loop: Header=BB18_9 Depth=1
	v_add_u32_e32 v4, 2, v19
	global_store_dword v[0:1], v4, off offset:-4
	s_or_b64 exec, exec, s[0:1]
	s_and_saveexec_b64 s[0:1], s[4:5]
	s_cbranch_execz .LBB18_8
.LBB18_30:                              ;   in Loop: Header=BB18_9 Depth=1
	v_add_u32_e32 v4, 3, v5
	global_store_dword v[0:1], v4, off
	s_branch .LBB18_8
.LBB18_31:
	s_endpgm
	.section	.rodata,"a",@progbits
	.p2align	6, 0x0
	.amdhsa_kernel _Z30block_run_length_decode_kernelI12hip_bfloat16iLj256ELj4ELj4EEvPKT_PKT0_PS1_PS4_
		.amdhsa_group_segment_fixed_size 6144
		.amdhsa_private_segment_fixed_size 0
		.amdhsa_kernarg_size 32
		.amdhsa_user_sgpr_count 6
		.amdhsa_user_sgpr_private_segment_buffer 1
		.amdhsa_user_sgpr_dispatch_ptr 0
		.amdhsa_user_sgpr_queue_ptr 0
		.amdhsa_user_sgpr_kernarg_segment_ptr 1
		.amdhsa_user_sgpr_dispatch_id 0
		.amdhsa_user_sgpr_flat_scratch_init 0
		.amdhsa_user_sgpr_kernarg_preload_length 0
		.amdhsa_user_sgpr_kernarg_preload_offset 0
		.amdhsa_user_sgpr_private_segment_size 0
		.amdhsa_uses_dynamic_stack 0
		.amdhsa_system_sgpr_private_segment_wavefront_offset 0
		.amdhsa_system_sgpr_workgroup_id_x 1
		.amdhsa_system_sgpr_workgroup_id_y 0
		.amdhsa_system_sgpr_workgroup_id_z 0
		.amdhsa_system_sgpr_workgroup_info 0
		.amdhsa_system_vgpr_workitem_id 0
		.amdhsa_next_free_vgpr 25
		.amdhsa_next_free_sgpr 16
		.amdhsa_accum_offset 28
		.amdhsa_reserve_vcc 1
		.amdhsa_reserve_flat_scratch 0
		.amdhsa_float_round_mode_32 0
		.amdhsa_float_round_mode_16_64 0
		.amdhsa_float_denorm_mode_32 3
		.amdhsa_float_denorm_mode_16_64 3
		.amdhsa_dx10_clamp 1
		.amdhsa_ieee_mode 1
		.amdhsa_fp16_overflow 0
		.amdhsa_tg_split 0
		.amdhsa_exception_fp_ieee_invalid_op 0
		.amdhsa_exception_fp_denorm_src 0
		.amdhsa_exception_fp_ieee_div_zero 0
		.amdhsa_exception_fp_ieee_overflow 0
		.amdhsa_exception_fp_ieee_underflow 0
		.amdhsa_exception_fp_ieee_inexact 0
		.amdhsa_exception_int_div_zero 0
	.end_amdhsa_kernel
	.section	.text._Z30block_run_length_decode_kernelI12hip_bfloat16iLj256ELj4ELj4EEvPKT_PKT0_PS1_PS4_,"axG",@progbits,_Z30block_run_length_decode_kernelI12hip_bfloat16iLj256ELj4ELj4EEvPKT_PKT0_PS1_PS4_,comdat
.Lfunc_end18:
	.size	_Z30block_run_length_decode_kernelI12hip_bfloat16iLj256ELj4ELj4EEvPKT_PKT0_PS1_PS4_, .Lfunc_end18-_Z30block_run_length_decode_kernelI12hip_bfloat16iLj256ELj4ELj4EEvPKT_PKT0_PS1_PS4_
                                        ; -- End function
	.section	.AMDGPU.csdata,"",@progbits
; Kernel info:
; codeLenInByte = 1972
; NumSgprs: 20
; NumVgprs: 25
; NumAgprs: 0
; TotalNumVgprs: 25
; ScratchSize: 0
; MemoryBound: 0
; FloatMode: 240
; IeeeMode: 1
; LDSByteSize: 6144 bytes/workgroup (compile time only)
; SGPRBlocks: 2
; VGPRBlocks: 3
; NumSGPRsForWavesPerEU: 20
; NumVGPRsForWavesPerEU: 25
; AccumOffset: 28
; Occupancy: 8
; WaveLimiterHint : 0
; COMPUTE_PGM_RSRC2:SCRATCH_EN: 0
; COMPUTE_PGM_RSRC2:USER_SGPR: 6
; COMPUTE_PGM_RSRC2:TRAP_HANDLER: 0
; COMPUTE_PGM_RSRC2:TGID_X_EN: 1
; COMPUTE_PGM_RSRC2:TGID_Y_EN: 0
; COMPUTE_PGM_RSRC2:TGID_Z_EN: 0
; COMPUTE_PGM_RSRC2:TIDIG_COMP_CNT: 0
; COMPUTE_PGM_RSRC3_GFX90A:ACCUM_OFFSET: 6
; COMPUTE_PGM_RSRC3_GFX90A:TG_SPLIT: 0
	.section	.text._Z30block_run_length_decode_kernelI6__halfiLj256ELj4ELj4EEvPKT_PKT0_PS1_PS4_,"axG",@progbits,_Z30block_run_length_decode_kernelI6__halfiLj256ELj4ELj4EEvPKT_PKT0_PS1_PS4_,comdat
	.protected	_Z30block_run_length_decode_kernelI6__halfiLj256ELj4ELj4EEvPKT_PKT0_PS1_PS4_ ; -- Begin function _Z30block_run_length_decode_kernelI6__halfiLj256ELj4ELj4EEvPKT_PKT0_PS1_PS4_
	.globl	_Z30block_run_length_decode_kernelI6__halfiLj256ELj4ELj4EEvPKT_PKT0_PS1_PS4_
	.p2align	8
	.type	_Z30block_run_length_decode_kernelI6__halfiLj256ELj4ELj4EEvPKT_PKT0_PS1_PS4_,@function
_Z30block_run_length_decode_kernelI6__halfiLj256ELj4ELj4EEvPKT_PKT0_PS1_PS4_: ; @_Z30block_run_length_decode_kernelI6__halfiLj256ELj4ELj4EEvPKT_PKT0_PS1_PS4_
; %bb.0:
	s_load_dwordx8 s[8:15], s[4:5], 0x0
	v_lshlrev_b32_e32 v14, 2, v0
	v_lshl_or_b32 v6, s6, 10, v14
	v_mov_b32_e32 v7, 0
	v_lshlrev_b64 v[10:11], 2, v[6:7]
	s_waitcnt lgkmcnt(0)
	v_mov_b32_e32 v1, s11
	v_add_co_u32_e32 v2, vcc, s10, v10
	v_addc_co_u32_e32 v3, vcc, v1, v11, vcc
	global_load_dwordx4 v[2:5], v[2:3], off
	v_lshlrev_b64 v[8:9], 1, v[6:7]
	v_mov_b32_e32 v1, s9
	v_add_co_u32_e32 v12, vcc, s8, v8
	v_addc_co_u32_e32 v13, vcc, v1, v9, vcc
	global_load_dwordx2 v[12:13], v[12:13], off
	v_mbcnt_lo_u32_b32 v1, -1, 0
	v_mbcnt_hi_u32_b32 v1, -1, v1
	v_and_b32_e32 v16, 15, v1
	v_cmp_ne_u32_e32 vcc, 0, v16
	v_bfe_i32 v17, v1, 4, 1
	v_or_b32_e32 v15, 63, v0
	v_lshrrev_b32_e32 v7, 6, v0
	s_waitcnt vmcnt(1)
	v_add_u32_e32 v18, v3, v2
	v_add3_u32 v5, v18, v4, v5
	s_nop 1
	v_mov_b32_dpp v18, v5 row_shr:1 row_mask:0xf bank_mask:0xf
	v_cndmask_b32_e32 v18, 0, v18, vcc
	v_add_u32_e32 v5, v18, v5
	v_cmp_lt_u32_e32 vcc, 1, v16
	s_nop 0
	v_mov_b32_dpp v18, v5 row_shr:2 row_mask:0xf bank_mask:0xf
	v_cndmask_b32_e32 v18, 0, v18, vcc
	v_add_u32_e32 v5, v5, v18
	v_cmp_lt_u32_e32 vcc, 3, v16
	;; [unrolled: 5-line block ×4, first 2 shown]
	s_nop 0
	v_mov_b32_dpp v16, v5 row_bcast:15 row_mask:0xf bank_mask:0xf
	v_and_b32_e32 v16, v17, v16
	v_add_u32_e32 v5, v5, v16
	s_nop 1
	v_mov_b32_dpp v16, v5 row_bcast:31 row_mask:0xf bank_mask:0xf
	v_cndmask_b32_e32 v16, 0, v16, vcc
	v_add_u32_e32 v5, v5, v16
	v_cmp_eq_u32_e32 vcc, v15, v0
	s_and_saveexec_b64 s[0:1], vcc
	s_cbranch_execz .LBB19_2
; %bb.1:
	v_lshlrev_b32_e32 v15, 2, v7
	ds_write_b32 v15, v5
.LBB19_2:
	s_or_b64 exec, exec, s[0:1]
	v_cmp_gt_u32_e32 vcc, 4, v0
	s_waitcnt lgkmcnt(0)
	s_barrier
	s_and_saveexec_b64 s[0:1], vcc
	s_cbranch_execz .LBB19_4
; %bb.3:
	ds_read_b32 v15, v14
	v_and_b32_e32 v16, 3, v1
	v_cmp_ne_u32_e32 vcc, 0, v16
	s_waitcnt lgkmcnt(0)
	v_mov_b32_dpp v17, v15 row_shr:1 row_mask:0xf bank_mask:0xf
	v_cndmask_b32_e32 v17, 0, v17, vcc
	v_add_u32_e32 v15, v17, v15
	v_cmp_lt_u32_e32 vcc, 1, v16
	s_nop 0
	v_mov_b32_dpp v17, v15 row_shr:2 row_mask:0xf bank_mask:0xf
	v_cndmask_b32_e32 v16, 0, v17, vcc
	v_add_u32_e32 v15, v15, v16
	ds_write_b32 v14, v15
.LBB19_4:
	s_or_b64 exec, exec, s[0:1]
	v_cmp_lt_u32_e32 vcc, 63, v0
	v_mov_b32_e32 v15, 0
	v_mov_b32_e32 v16, 0
	s_waitcnt lgkmcnt(0)
	s_barrier
	s_and_saveexec_b64 s[0:1], vcc
	s_cbranch_execz .LBB19_6
; %bb.5:
	v_lshl_add_u32 v7, v7, 2, -4
	ds_read_b32 v16, v7
.LBB19_6:
	s_or_b64 exec, exec, s[0:1]
	v_add_u32_e32 v7, -1, v1
	v_and_b32_e32 v17, 64, v1
	v_cmp_lt_i32_e32 vcc, v7, v17
	v_cndmask_b32_e32 v7, v7, v1, vcc
	s_waitcnt lgkmcnt(0)
	v_add_u32_e32 v5, v16, v5
	v_lshlrev_b32_e32 v7, 2, v7
	ds_bpermute_b32 v5, v7, v5
	v_cmp_eq_u32_e32 vcc, 0, v1
	v_lshlrev_b32_e32 v7, 2, v14
	s_mov_b32 s8, 0
	s_waitcnt lgkmcnt(0)
	v_cndmask_b32_e32 v1, v5, v16, vcc
	ds_read_b32 v5, v15 offset:12
	v_cmp_ne_u32_e32 vcc, 0, v0
	v_cndmask_b32_e32 v0, 0, v1, vcc
	v_add_u32_e32 v1, v0, v2
	v_add_u32_e32 v2, v1, v3
	s_waitcnt lgkmcnt(0)
	v_cmp_eq_u32_e32 vcc, 0, v5
	v_add_u32_e32 v3, v2, v4
	v_readfirstlane_b32 s9, v5
	v_lshlrev_b32_e32 v4, 1, v14
	v_add_u32_e32 v15, 0x800, v7
	s_and_b64 vcc, exec, vcc
	s_barrier
	ds_write2_b32 v15, v0, v1 offset1:1
	v_add_u32_e32 v0, 0x808, v7
	s_waitcnt vmcnt(0)
	ds_write_b64 v4, v[12:13]
	ds_write2_b32 v0, v2, v3 offset1:1
	s_waitcnt lgkmcnt(0)
	s_barrier
	s_cbranch_vccnz .LBB19_31
; %bb.7:
	v_mov_b32_e32 v0, 0
	ds_read_b32 v7, v0 offset:4096
	v_mov_b32_e32 v0, s15
	v_add_co_u32_e32 v1, vcc, s14, v10
	v_addc_co_u32_e32 v2, vcc, v11, v0, vcc
	v_add_co_u32_e32 v0, vcc, 12, v1
	v_addc_co_u32_e32 v1, vcc, 0, v2, vcc
	v_mov_b32_e32 v2, s13
	v_add_co_u32_e32 v3, vcc, s12, v8
	v_addc_co_u32_e32 v4, vcc, v9, v2, vcc
	v_add_co_u32_e32 v2, vcc, 4, v3
	v_or_b32_e32 v12, 1, v6
	v_or_b32_e32 v13, 2, v6
	;; [unrolled: 1-line block ×3, first 2 shown]
	v_addc_co_u32_e32 v3, vcc, 0, v4, vcc
	v_mov_b32_e32 v8, 0x201
	v_mov_b32_e32 v9, 0x400
	;; [unrolled: 1-line block ×5, first 2 shown]
	s_mov_b32 s10, s9
	s_branch .LBB19_9
.LBB19_8:                               ;   in Loop: Header=BB19_9 Depth=1
	s_or_b64 exec, exec, s[0:1]
	v_add_co_u32_e32 v0, vcc, 0x1000, v0
	v_addc_co_u32_e32 v1, vcc, 0, v1, vcc
	s_addk_i32 s8, 0x400
	s_addk_i32 s10, 0xfc00
	v_add_co_u32_e32 v2, vcc, 0x800, v2
	s_cmp_lt_u32 s8, s9
	v_addc_co_u32_e32 v3, vcc, 0, v3, vcc
	s_cbranch_scc0 .LBB19_31
.LBB19_9:                               ; =>This Inner Loop Header: Depth=1
	v_add_u32_e32 v17, s8, v14
	s_waitcnt lgkmcnt(0)
	v_cmp_gt_u32_e32 vcc, v7, v17
	v_cndmask_b32_e32 v5, v11, v16, vcc
	v_lshlrev_b32_e32 v18, 2, v5
	ds_read_b32 v18, v18 offset:2048
	v_cndmask_b32_e64 v4, v8, 0, vcc
	v_cndmask_b32_e32 v19, v9, v10, vcc
	v_or_b32_e32 v20, 1, v5
	s_waitcnt lgkmcnt(0)
	v_cmp_gt_u32_e32 vcc, v18, v17
	v_cndmask_b32_e32 v4, v20, v4, vcc
	v_cndmask_b32_e32 v5, v19, v5, vcc
	v_sub_u32_e32 v18, v5, v4
	v_lshrrev_b16_e32 v19, 15, v18
	v_add_u16_e32 v18, v18, v19
	v_ashrrev_i16_e32 v18, 1, v18
	v_add_u32_sdwa v18, v4, sext(v18) dst_sel:DWORD dst_unused:UNUSED_PAD src0_sel:DWORD src1_sel:WORD_0
	v_min_i32_e32 v18, 0x3ff, v18
	v_lshlrev_b32_e32 v19, 2, v18
	ds_read_b32 v19, v19 offset:2048
	v_add_u32_e32 v20, 1, v18
	s_waitcnt lgkmcnt(0)
	v_cmp_gt_u32_e32 vcc, v19, v17
	v_cndmask_b32_e32 v4, v20, v4, vcc
	v_cndmask_b32_e32 v5, v5, v18, vcc
	v_sub_u32_e32 v18, v5, v4
	v_lshrrev_b16_e32 v19, 15, v18
	v_add_u16_e32 v18, v18, v19
	v_ashrrev_i16_e32 v18, 1, v18
	v_add_u32_sdwa v18, v4, sext(v18) dst_sel:DWORD dst_unused:UNUSED_PAD src0_sel:DWORD src1_sel:WORD_0
	v_min_i32_e32 v18, 0x3ff, v18
	v_lshlrev_b32_e32 v19, 2, v18
	ds_read_b32 v19, v19 offset:2048
	v_add_u32_e32 v20, 1, v18
	;; [unrolled: 13-line block ×9, first 2 shown]
	s_waitcnt lgkmcnt(0)
	v_cmp_gt_u32_e32 vcc, v18, v17
	v_cndmask_b32_e32 v22, v5, v4, vcc
	v_lshlrev_b32_e32 v19, 2, v22
	v_add_u32_e32 v4, 0x7fc, v19
	ds_read2_b32 v[4:5], v4 offset1:1
	v_lshl_add_u32 v18, v22, 1, -2
	ds_read_u16 v20, v18
	v_add_u32_e32 v18, 1, v17
	s_waitcnt lgkmcnt(1)
	v_sub_u32_e32 v4, v17, v4
	v_cmp_eq_u32_e32 vcc, v18, v5
	v_mov_b32_e32 v18, v4
	s_waitcnt lgkmcnt(0)
	v_mov_b32_e32 v21, v20
	s_and_saveexec_b64 s[0:1], vcc
	s_cbranch_execz .LBB19_11
; %bb.10:                               ;   in Loop: Header=BB19_9 Depth=1
	v_lshlrev_b32_e32 v18, 1, v22
	ds_read_b32 v19, v19 offset:2052
	ds_read_u16 v21, v18
	v_add_u32_e32 v22, 1, v22
	v_sub_u32_e32 v18, v17, v5
	s_waitcnt lgkmcnt(1)
	v_mov_b32_e32 v5, v19
.LBB19_11:                              ;   in Loop: Header=BB19_9 Depth=1
	s_or_b64 exec, exec, s[0:1]
	v_add_u32_e32 v19, 2, v17
	v_cmp_eq_u32_e32 vcc, v19, v5
	v_mov_b32_e32 v19, v18
	s_waitcnt lgkmcnt(0)
	v_mov_b32_e32 v23, v21
	s_and_saveexec_b64 s[0:1], vcc
	s_cbranch_execz .LBB19_13
; %bb.12:                               ;   in Loop: Header=BB19_9 Depth=1
	v_add_u32_e32 v24, 1, v22
	v_lshlrev_b32_e32 v19, 2, v24
	v_lshlrev_b32_e32 v22, 1, v22
	ds_read_b32 v25, v19 offset:2048
	ds_read_u16 v23, v22
	v_sub_u32_e32 v19, v17, v5
	v_mov_b32_e32 v22, v24
	s_waitcnt lgkmcnt(1)
	v_mov_b32_e32 v5, v25
.LBB19_13:                              ;   in Loop: Header=BB19_9 Depth=1
	s_or_b64 exec, exec, s[0:1]
	v_add_u32_e32 v24, 3, v17
	v_cmp_eq_u32_e32 vcc, v24, v5
	v_mov_b32_e32 v5, v19
	s_waitcnt lgkmcnt(0)
	v_mov_b32_e32 v24, v23
	s_and_saveexec_b64 s[0:1], vcc
	s_cbranch_execz .LBB19_15
; %bb.14:                               ;   in Loop: Header=BB19_9 Depth=1
	v_lshlrev_b32_e32 v5, 2, v22
	v_lshlrev_b32_e32 v22, 1, v22
	ds_read_b32 v5, v5 offset:2048
	ds_read_u16 v24, v22
	s_waitcnt lgkmcnt(1)
	v_sub_u32_e32 v5, v17, v5
.LBB19_15:                              ;   in Loop: Header=BB19_9 Depth=1
	s_or_b64 exec, exec, s[0:1]
	s_min_u32 s6, s10, 0x400
	v_cmp_gt_u32_e32 vcc, s6, v6
	s_and_saveexec_b64 s[0:1], vcc
	s_cbranch_execnz .LBB19_23
; %bb.16:                               ;   in Loop: Header=BB19_9 Depth=1
	s_or_b64 exec, exec, s[0:1]
	v_cmp_gt_u32_e64 s[0:1], s6, v12
	s_and_saveexec_b64 s[2:3], s[0:1]
	s_cbranch_execnz .LBB19_24
.LBB19_17:                              ;   in Loop: Header=BB19_9 Depth=1
	s_or_b64 exec, exec, s[2:3]
	v_cmp_gt_u32_e64 s[2:3], s6, v13
	s_and_saveexec_b64 s[4:5], s[2:3]
	s_cbranch_execnz .LBB19_25
.LBB19_18:                              ;   in Loop: Header=BB19_9 Depth=1
	s_or_b64 exec, exec, s[4:5]
	v_cmp_gt_u32_e64 s[4:5], s6, v15
	s_and_saveexec_b64 s[6:7], s[4:5]
	s_cbranch_execnz .LBB19_26
.LBB19_19:                              ;   in Loop: Header=BB19_9 Depth=1
	s_or_b64 exec, exec, s[6:7]
	s_and_saveexec_b64 s[6:7], vcc
	s_cbranch_execnz .LBB19_27
.LBB19_20:                              ;   in Loop: Header=BB19_9 Depth=1
	s_or_b64 exec, exec, s[6:7]
	s_and_saveexec_b64 s[6:7], s[0:1]
	s_cbranch_execnz .LBB19_28
.LBB19_21:                              ;   in Loop: Header=BB19_9 Depth=1
	s_or_b64 exec, exec, s[6:7]
	s_and_saveexec_b64 s[0:1], s[2:3]
	s_cbranch_execnz .LBB19_29
.LBB19_22:                              ;   in Loop: Header=BB19_9 Depth=1
	s_or_b64 exec, exec, s[0:1]
	s_and_saveexec_b64 s[0:1], s[4:5]
	s_cbranch_execz .LBB19_8
	s_branch .LBB19_30
.LBB19_23:                              ;   in Loop: Header=BB19_9 Depth=1
	global_store_short v[2:3], v20, off offset:-4
	s_or_b64 exec, exec, s[0:1]
	v_cmp_gt_u32_e64 s[0:1], s6, v12
	s_and_saveexec_b64 s[2:3], s[0:1]
	s_cbranch_execz .LBB19_17
.LBB19_24:                              ;   in Loop: Header=BB19_9 Depth=1
	global_store_short v[2:3], v21, off offset:-2
	s_or_b64 exec, exec, s[2:3]
	v_cmp_gt_u32_e64 s[2:3], s6, v13
	s_and_saveexec_b64 s[4:5], s[2:3]
	s_cbranch_execz .LBB19_18
.LBB19_25:                              ;   in Loop: Header=BB19_9 Depth=1
	global_store_short v[2:3], v23, off
	s_or_b64 exec, exec, s[4:5]
	v_cmp_gt_u32_e64 s[4:5], s6, v15
	s_and_saveexec_b64 s[6:7], s[4:5]
	s_cbranch_execz .LBB19_19
.LBB19_26:                              ;   in Loop: Header=BB19_9 Depth=1
	s_waitcnt lgkmcnt(0)
	global_store_short v[2:3], v24, off offset:2
	s_or_b64 exec, exec, s[6:7]
	s_and_saveexec_b64 s[6:7], vcc
	s_cbranch_execz .LBB19_20
.LBB19_27:                              ;   in Loop: Header=BB19_9 Depth=1
	global_store_dword v[0:1], v4, off offset:-12
	s_or_b64 exec, exec, s[6:7]
	s_and_saveexec_b64 s[6:7], s[0:1]
	s_cbranch_execz .LBB19_21
.LBB19_28:                              ;   in Loop: Header=BB19_9 Depth=1
	v_add_u32_e32 v4, 1, v18
	global_store_dword v[0:1], v4, off offset:-8
	s_or_b64 exec, exec, s[6:7]
	s_and_saveexec_b64 s[0:1], s[2:3]
	s_cbranch_execz .LBB19_22
.LBB19_29:                              ;   in Loop: Header=BB19_9 Depth=1
	v_add_u32_e32 v4, 2, v19
	global_store_dword v[0:1], v4, off offset:-4
	s_or_b64 exec, exec, s[0:1]
	s_and_saveexec_b64 s[0:1], s[4:5]
	s_cbranch_execz .LBB19_8
.LBB19_30:                              ;   in Loop: Header=BB19_9 Depth=1
	v_add_u32_e32 v4, 3, v5
	global_store_dword v[0:1], v4, off
	s_branch .LBB19_8
.LBB19_31:
	s_endpgm
	.section	.rodata,"a",@progbits
	.p2align	6, 0x0
	.amdhsa_kernel _Z30block_run_length_decode_kernelI6__halfiLj256ELj4ELj4EEvPKT_PKT0_PS1_PS4_
		.amdhsa_group_segment_fixed_size 6144
		.amdhsa_private_segment_fixed_size 0
		.amdhsa_kernarg_size 32
		.amdhsa_user_sgpr_count 6
		.amdhsa_user_sgpr_private_segment_buffer 1
		.amdhsa_user_sgpr_dispatch_ptr 0
		.amdhsa_user_sgpr_queue_ptr 0
		.amdhsa_user_sgpr_kernarg_segment_ptr 1
		.amdhsa_user_sgpr_dispatch_id 0
		.amdhsa_user_sgpr_flat_scratch_init 0
		.amdhsa_user_sgpr_kernarg_preload_length 0
		.amdhsa_user_sgpr_kernarg_preload_offset 0
		.amdhsa_user_sgpr_private_segment_size 0
		.amdhsa_uses_dynamic_stack 0
		.amdhsa_system_sgpr_private_segment_wavefront_offset 0
		.amdhsa_system_sgpr_workgroup_id_x 1
		.amdhsa_system_sgpr_workgroup_id_y 0
		.amdhsa_system_sgpr_workgroup_id_z 0
		.amdhsa_system_sgpr_workgroup_info 0
		.amdhsa_system_vgpr_workitem_id 0
		.amdhsa_next_free_vgpr 26
		.amdhsa_next_free_sgpr 16
		.amdhsa_accum_offset 28
		.amdhsa_reserve_vcc 1
		.amdhsa_reserve_flat_scratch 0
		.amdhsa_float_round_mode_32 0
		.amdhsa_float_round_mode_16_64 0
		.amdhsa_float_denorm_mode_32 3
		.amdhsa_float_denorm_mode_16_64 3
		.amdhsa_dx10_clamp 1
		.amdhsa_ieee_mode 1
		.amdhsa_fp16_overflow 0
		.amdhsa_tg_split 0
		.amdhsa_exception_fp_ieee_invalid_op 0
		.amdhsa_exception_fp_denorm_src 0
		.amdhsa_exception_fp_ieee_div_zero 0
		.amdhsa_exception_fp_ieee_overflow 0
		.amdhsa_exception_fp_ieee_underflow 0
		.amdhsa_exception_fp_ieee_inexact 0
		.amdhsa_exception_int_div_zero 0
	.end_amdhsa_kernel
	.section	.text._Z30block_run_length_decode_kernelI6__halfiLj256ELj4ELj4EEvPKT_PKT0_PS1_PS4_,"axG",@progbits,_Z30block_run_length_decode_kernelI6__halfiLj256ELj4ELj4EEvPKT_PKT0_PS1_PS4_,comdat
.Lfunc_end19:
	.size	_Z30block_run_length_decode_kernelI6__halfiLj256ELj4ELj4EEvPKT_PKT0_PS1_PS4_, .Lfunc_end19-_Z30block_run_length_decode_kernelI6__halfiLj256ELj4ELj4EEvPKT_PKT0_PS1_PS4_
                                        ; -- End function
	.section	.AMDGPU.csdata,"",@progbits
; Kernel info:
; codeLenInByte = 1976
; NumSgprs: 20
; NumVgprs: 26
; NumAgprs: 0
; TotalNumVgprs: 26
; ScratchSize: 0
; MemoryBound: 0
; FloatMode: 240
; IeeeMode: 1
; LDSByteSize: 6144 bytes/workgroup (compile time only)
; SGPRBlocks: 2
; VGPRBlocks: 3
; NumSGPRsForWavesPerEU: 20
; NumVGPRsForWavesPerEU: 26
; AccumOffset: 28
; Occupancy: 8
; WaveLimiterHint : 0
; COMPUTE_PGM_RSRC2:SCRATCH_EN: 0
; COMPUTE_PGM_RSRC2:USER_SGPR: 6
; COMPUTE_PGM_RSRC2:TRAP_HANDLER: 0
; COMPUTE_PGM_RSRC2:TGID_X_EN: 1
; COMPUTE_PGM_RSRC2:TGID_Y_EN: 0
; COMPUTE_PGM_RSRC2:TGID_Z_EN: 0
; COMPUTE_PGM_RSRC2:TIDIG_COMP_CNT: 0
; COMPUTE_PGM_RSRC3_GFX90A:ACCUM_OFFSET: 6
; COMPUTE_PGM_RSRC3_GFX90A:TG_SPLIT: 0
	.section	.text._Z30block_run_length_decode_kernelIfiLj256ELj4ELj4EEvPKT_PKT0_PS0_PS3_,"axG",@progbits,_Z30block_run_length_decode_kernelIfiLj256ELj4ELj4EEvPKT_PKT0_PS0_PS3_,comdat
	.protected	_Z30block_run_length_decode_kernelIfiLj256ELj4ELj4EEvPKT_PKT0_PS0_PS3_ ; -- Begin function _Z30block_run_length_decode_kernelIfiLj256ELj4ELj4EEvPKT_PKT0_PS0_PS3_
	.globl	_Z30block_run_length_decode_kernelIfiLj256ELj4ELj4EEvPKT_PKT0_PS0_PS3_
	.p2align	8
	.type	_Z30block_run_length_decode_kernelIfiLj256ELj4ELj4EEvPKT_PKT0_PS0_PS3_,@function
_Z30block_run_length_decode_kernelIfiLj256ELj4ELj4EEvPKT_PKT0_PS0_PS3_: ; @_Z30block_run_length_decode_kernelIfiLj256ELj4ELj4EEvPKT_PKT0_PS0_PS3_
; %bb.0:
	s_load_dwordx8 s[8:15], s[4:5], 0x0
	v_lshlrev_b32_e32 v14, 2, v0
	v_lshl_or_b32 v10, s6, 10, v14
	v_mov_b32_e32 v11, 0
	v_lshlrev_b64 v[12:13], 2, v[10:11]
	s_waitcnt lgkmcnt(0)
	v_mov_b32_e32 v1, s11
	v_add_co_u32_e32 v2, vcc, s10, v12
	v_addc_co_u32_e32 v3, vcc, v1, v13, vcc
	global_load_dwordx4 v[6:9], v[2:3], off
	v_mov_b32_e32 v1, s9
	v_add_co_u32_e32 v2, vcc, s8, v12
	v_addc_co_u32_e32 v3, vcc, v1, v13, vcc
	global_load_dwordx4 v[2:5], v[2:3], off
	v_mbcnt_lo_u32_b32 v1, -1, 0
	v_mbcnt_hi_u32_b32 v1, -1, v1
	v_and_b32_e32 v16, 15, v1
	v_cmp_ne_u32_e32 vcc, 0, v16
	v_bfe_i32 v17, v1, 4, 1
	v_or_b32_e32 v15, 63, v0
	v_lshrrev_b32_e32 v11, 6, v0
	s_waitcnt vmcnt(1)
	v_add_u32_e32 v18, v7, v6
	v_add3_u32 v9, v18, v8, v9
	s_nop 1
	v_mov_b32_dpp v18, v9 row_shr:1 row_mask:0xf bank_mask:0xf
	v_cndmask_b32_e32 v18, 0, v18, vcc
	v_add_u32_e32 v9, v18, v9
	v_cmp_lt_u32_e32 vcc, 1, v16
	s_nop 0
	v_mov_b32_dpp v18, v9 row_shr:2 row_mask:0xf bank_mask:0xf
	v_cndmask_b32_e32 v18, 0, v18, vcc
	v_add_u32_e32 v9, v9, v18
	v_cmp_lt_u32_e32 vcc, 3, v16
	;; [unrolled: 5-line block ×4, first 2 shown]
	s_nop 0
	v_mov_b32_dpp v16, v9 row_bcast:15 row_mask:0xf bank_mask:0xf
	v_and_b32_e32 v16, v17, v16
	v_add_u32_e32 v9, v9, v16
	s_nop 1
	v_mov_b32_dpp v16, v9 row_bcast:31 row_mask:0xf bank_mask:0xf
	v_cndmask_b32_e32 v16, 0, v16, vcc
	v_add_u32_e32 v9, v9, v16
	v_cmp_eq_u32_e32 vcc, v15, v0
	s_and_saveexec_b64 s[0:1], vcc
	s_cbranch_execz .LBB20_2
; %bb.1:
	v_lshlrev_b32_e32 v15, 2, v11
	ds_write_b32 v15, v9
.LBB20_2:
	s_or_b64 exec, exec, s[0:1]
	v_cmp_gt_u32_e32 vcc, 4, v0
	s_waitcnt lgkmcnt(0)
	s_barrier
	s_and_saveexec_b64 s[0:1], vcc
	s_cbranch_execz .LBB20_4
; %bb.3:
	ds_read_b32 v15, v14
	v_and_b32_e32 v16, 3, v1
	v_cmp_ne_u32_e32 vcc, 0, v16
	s_waitcnt lgkmcnt(0)
	v_mov_b32_dpp v17, v15 row_shr:1 row_mask:0xf bank_mask:0xf
	v_cndmask_b32_e32 v17, 0, v17, vcc
	v_add_u32_e32 v15, v17, v15
	v_cmp_lt_u32_e32 vcc, 1, v16
	s_nop 0
	v_mov_b32_dpp v17, v15 row_shr:2 row_mask:0xf bank_mask:0xf
	v_cndmask_b32_e32 v16, 0, v17, vcc
	v_add_u32_e32 v15, v15, v16
	ds_write_b32 v14, v15
.LBB20_4:
	s_or_b64 exec, exec, s[0:1]
	v_cmp_lt_u32_e32 vcc, 63, v0
	v_mov_b32_e32 v15, 0
	v_mov_b32_e32 v16, 0
	s_waitcnt lgkmcnt(0)
	s_barrier
	s_and_saveexec_b64 s[0:1], vcc
	s_cbranch_execz .LBB20_6
; %bb.5:
	v_lshl_add_u32 v11, v11, 2, -4
	ds_read_b32 v16, v11
.LBB20_6:
	s_or_b64 exec, exec, s[0:1]
	v_add_u32_e32 v11, -1, v1
	v_and_b32_e32 v17, 64, v1
	v_cmp_lt_i32_e32 vcc, v11, v17
	v_cndmask_b32_e32 v11, v11, v1, vcc
	s_waitcnt lgkmcnt(0)
	v_add_u32_e32 v9, v16, v9
	v_lshlrev_b32_e32 v11, 2, v11
	ds_bpermute_b32 v9, v11, v9
	v_cmp_eq_u32_e32 vcc, 0, v1
	s_mov_b32 s8, 0
	s_waitcnt lgkmcnt(0)
	v_cndmask_b32_e32 v1, v9, v16, vcc
	ds_read_b32 v9, v15 offset:12
	v_cmp_ne_u32_e32 vcc, 0, v0
	v_cndmask_b32_e32 v0, 0, v1, vcc
	v_add_u32_e32 v1, v0, v6
	v_add_u32_e32 v6, v1, v7
	s_waitcnt lgkmcnt(0)
	v_cmp_eq_u32_e32 vcc, 0, v9
	v_add_u32_e32 v7, v6, v8
	v_readfirstlane_b32 s9, v9
	v_lshlrev_b32_e32 v8, 2, v14
	s_and_b64 vcc, exec, vcc
	s_barrier
	v_or_b32_e32 v11, 0x1000, v8
	s_waitcnt vmcnt(0)
	ds_write2_b32 v8, v2, v3 offset1:1
	ds_write2_b32 v11, v0, v1 offset1:1
	v_add_u32_e32 v0, 0x1008, v8
	ds_write2_b32 v8, v4, v5 offset0:2 offset1:3
	ds_write2_b32 v0, v6, v7 offset1:1
	s_waitcnt lgkmcnt(0)
	s_barrier
	s_cbranch_vccnz .LBB20_31
; %bb.7:
	v_mov_b32_e32 v0, 0
	ds_read_b32 v4, v0 offset:6144
	v_or_b32_e32 v5, 1, v10
	v_or_b32_e32 v6, 2, v10
	;; [unrolled: 1-line block ×3, first 2 shown]
	v_mov_b32_e32 v8, 0x201
	v_mov_b32_e32 v9, 0x400
	;; [unrolled: 1-line block ×5, first 2 shown]
	s_mov_b32 s10, s9
	s_branch .LBB20_9
.LBB20_8:                               ;   in Loop: Header=BB20_9 Depth=1
	s_or_b64 exec, exec, s[0:1]
	s_addk_i32 s8, 0x400
	s_addk_i32 s10, 0xfc00
	s_add_u32 s14, s14, 0x1000
	s_addc_u32 s15, s15, 0
	s_add_u32 s12, s12, 0x1000
	s_addc_u32 s13, s13, 0
	s_cmp_lt_u32 s8, s9
	s_cbranch_scc0 .LBB20_31
.LBB20_9:                               ; =>This Inner Loop Header: Depth=1
	v_add_u32_e32 v2, s8, v14
	s_waitcnt lgkmcnt(0)
	v_cmp_gt_u32_e32 vcc, v4, v2
	v_cndmask_b32_e32 v1, v15, v16, vcc
	v_lshlrev_b32_e32 v3, 2, v1
	ds_read_b32 v3, v3 offset:4096
	v_cndmask_b32_e64 v0, v8, 0, vcc
	v_cndmask_b32_e32 v17, v9, v11, vcc
	v_or_b32_e32 v18, 1, v1
	s_waitcnt lgkmcnt(0)
	v_cmp_gt_u32_e32 vcc, v3, v2
	v_cndmask_b32_e32 v0, v18, v0, vcc
	v_cndmask_b32_e32 v1, v17, v1, vcc
	v_sub_u32_e32 v3, v1, v0
	v_lshrrev_b16_e32 v17, 15, v3
	v_add_u16_e32 v3, v3, v17
	v_ashrrev_i16_e32 v3, 1, v3
	v_add_u32_sdwa v3, v0, sext(v3) dst_sel:DWORD dst_unused:UNUSED_PAD src0_sel:DWORD src1_sel:WORD_0
	v_min_i32_e32 v3, 0x3ff, v3
	v_lshlrev_b32_e32 v17, 2, v3
	ds_read_b32 v17, v17 offset:4096
	v_add_u32_e32 v18, 1, v3
	s_waitcnt lgkmcnt(0)
	v_cmp_gt_u32_e32 vcc, v17, v2
	v_cndmask_b32_e32 v0, v18, v0, vcc
	v_cndmask_b32_e32 v1, v1, v3, vcc
	v_sub_u32_e32 v3, v1, v0
	v_lshrrev_b16_e32 v17, 15, v3
	v_add_u16_e32 v3, v3, v17
	v_ashrrev_i16_e32 v3, 1, v3
	v_add_u32_sdwa v3, v0, sext(v3) dst_sel:DWORD dst_unused:UNUSED_PAD src0_sel:DWORD src1_sel:WORD_0
	v_min_i32_e32 v3, 0x3ff, v3
	v_lshlrev_b32_e32 v17, 2, v3
	ds_read_b32 v17, v17 offset:4096
	v_add_u32_e32 v18, 1, v3
	s_waitcnt lgkmcnt(0)
	v_cmp_gt_u32_e32 vcc, v17, v2
	v_cndmask_b32_e32 v0, v18, v0, vcc
	v_cndmask_b32_e32 v1, v1, v3, vcc
	v_sub_u32_e32 v3, v1, v0
	v_lshrrev_b16_e32 v17, 15, v3
	v_add_u16_e32 v3, v3, v17
	v_ashrrev_i16_e32 v3, 1, v3
	v_add_u32_sdwa v3, v0, sext(v3) dst_sel:DWORD dst_unused:UNUSED_PAD src0_sel:DWORD src1_sel:WORD_0
	v_min_i32_e32 v3, 0x3ff, v3
	v_lshlrev_b32_e32 v17, 2, v3
	ds_read_b32 v17, v17 offset:4096
	v_add_u32_e32 v18, 1, v3
	s_waitcnt lgkmcnt(0)
	v_cmp_gt_u32_e32 vcc, v17, v2
	v_cndmask_b32_e32 v0, v18, v0, vcc
	v_cndmask_b32_e32 v1, v1, v3, vcc
	v_sub_u32_e32 v3, v1, v0
	v_lshrrev_b16_e32 v17, 15, v3
	v_add_u16_e32 v3, v3, v17
	v_ashrrev_i16_e32 v3, 1, v3
	v_add_u32_sdwa v3, v0, sext(v3) dst_sel:DWORD dst_unused:UNUSED_PAD src0_sel:DWORD src1_sel:WORD_0
	v_min_i32_e32 v3, 0x3ff, v3
	v_lshlrev_b32_e32 v17, 2, v3
	ds_read_b32 v17, v17 offset:4096
	v_add_u32_e32 v18, 1, v3
	s_waitcnt lgkmcnt(0)
	v_cmp_gt_u32_e32 vcc, v17, v2
	v_cndmask_b32_e32 v0, v18, v0, vcc
	v_cndmask_b32_e32 v1, v1, v3, vcc
	v_sub_u32_e32 v3, v1, v0
	v_lshrrev_b16_e32 v17, 15, v3
	v_add_u16_e32 v3, v3, v17
	v_ashrrev_i16_e32 v3, 1, v3
	v_add_u32_sdwa v3, v0, sext(v3) dst_sel:DWORD dst_unused:UNUSED_PAD src0_sel:DWORD src1_sel:WORD_0
	v_min_i32_e32 v3, 0x3ff, v3
	v_lshlrev_b32_e32 v17, 2, v3
	ds_read_b32 v17, v17 offset:4096
	v_add_u32_e32 v18, 1, v3
	s_waitcnt lgkmcnt(0)
	v_cmp_gt_u32_e32 vcc, v17, v2
	v_cndmask_b32_e32 v0, v18, v0, vcc
	v_cndmask_b32_e32 v1, v1, v3, vcc
	v_sub_u32_e32 v3, v1, v0
	v_lshrrev_b16_e32 v17, 15, v3
	v_add_u16_e32 v3, v3, v17
	v_ashrrev_i16_e32 v3, 1, v3
	v_add_u32_sdwa v3, v0, sext(v3) dst_sel:DWORD dst_unused:UNUSED_PAD src0_sel:DWORD src1_sel:WORD_0
	v_min_i32_e32 v3, 0x3ff, v3
	v_lshlrev_b32_e32 v17, 2, v3
	ds_read_b32 v17, v17 offset:4096
	v_add_u32_e32 v18, 1, v3
	s_waitcnt lgkmcnt(0)
	v_cmp_gt_u32_e32 vcc, v17, v2
	v_cndmask_b32_e32 v0, v18, v0, vcc
	v_cndmask_b32_e32 v1, v1, v3, vcc
	v_sub_u32_e32 v3, v1, v0
	v_lshrrev_b16_e32 v17, 15, v3
	v_add_u16_e32 v3, v3, v17
	v_ashrrev_i16_e32 v3, 1, v3
	v_add_u32_sdwa v3, v0, sext(v3) dst_sel:DWORD dst_unused:UNUSED_PAD src0_sel:DWORD src1_sel:WORD_0
	v_min_i32_e32 v3, 0x3ff, v3
	v_lshlrev_b32_e32 v17, 2, v3
	ds_read_b32 v17, v17 offset:4096
	v_add_u32_e32 v18, 1, v3
	s_waitcnt lgkmcnt(0)
	v_cmp_gt_u32_e32 vcc, v17, v2
	v_cndmask_b32_e32 v0, v18, v0, vcc
	v_cndmask_b32_e32 v1, v1, v3, vcc
	v_sub_u32_e32 v3, v1, v0
	v_lshrrev_b16_e32 v17, 15, v3
	v_add_u16_e32 v3, v3, v17
	v_ashrrev_i16_e32 v3, 1, v3
	v_add_u32_sdwa v3, v0, sext(v3) dst_sel:DWORD dst_unused:UNUSED_PAD src0_sel:DWORD src1_sel:WORD_0
	v_min_i32_e32 v3, 0x3ff, v3
	v_lshlrev_b32_e32 v17, 2, v3
	ds_read_b32 v17, v17 offset:4096
	v_add_u32_e32 v18, 1, v3
	s_waitcnt lgkmcnt(0)
	v_cmp_gt_u32_e32 vcc, v17, v2
	v_cndmask_b32_e32 v0, v18, v0, vcc
	v_cndmask_b32_e32 v1, v1, v3, vcc
	v_sub_u32_e32 v1, v1, v0
	v_lshrrev_b16_e32 v3, 15, v1
	v_add_u16_e32 v1, v1, v3
	v_ashrrev_i16_e32 v1, 1, v1
	v_add_u32_sdwa v1, v0, sext(v1) dst_sel:DWORD dst_unused:UNUSED_PAD src0_sel:DWORD src1_sel:WORD_0
	v_min_i32_e32 v1, 0x3ff, v1
	v_lshlrev_b32_e32 v3, 2, v1
	ds_read_b32 v3, v3 offset:4096
	v_add_u32_e32 v1, 1, v1
	s_waitcnt lgkmcnt(0)
	v_cmp_gt_u32_e32 vcc, v3, v2
	v_cndmask_b32_e32 v3, v1, v0, vcc
	v_lshlrev_b32_e32 v19, 2, v3
	v_add_u32_e32 v0, 0xffc, v19
	ds_read2_b32 v[0:1], v0 offset1:1
	v_add_u32_e32 v17, -4, v19
	ds_read_b32 v21, v17
	v_add_u32_e32 v17, 1, v2
	s_waitcnt lgkmcnt(1)
	v_sub_u32_e32 v18, v2, v0
	v_cmp_eq_u32_e32 vcc, v17, v1
	v_mov_b32_e32 v17, v18
	s_waitcnt lgkmcnt(0)
	v_mov_b32_e32 v22, v21
	s_and_saveexec_b64 s[0:1], vcc
	s_cbranch_execz .LBB20_11
; %bb.10:                               ;   in Loop: Header=BB20_9 Depth=1
	ds_read_b32 v0, v19 offset:4100
	ds_read_b32 v22, v19
	v_add_u32_e32 v3, 1, v3
	v_sub_u32_e32 v17, v2, v1
	s_waitcnt lgkmcnt(1)
	v_mov_b32_e32 v1, v0
.LBB20_11:                              ;   in Loop: Header=BB20_9 Depth=1
	s_or_b64 exec, exec, s[0:1]
	v_add_u32_e32 v0, 2, v2
	v_cmp_eq_u32_e32 vcc, v0, v1
	v_mov_b32_e32 v19, v17
	s_waitcnt lgkmcnt(0)
	v_mov_b32_e32 v23, v22
	s_and_saveexec_b64 s[0:1], vcc
	s_cbranch_execz .LBB20_13
; %bb.12:                               ;   in Loop: Header=BB20_9 Depth=1
	v_lshlrev_b32_e32 v0, 2, v3
	ds_read_b32 v20, v0 offset:4100
	ds_read_b32 v23, v0
	v_add_u32_e32 v3, 1, v3
	v_sub_u32_e32 v19, v2, v1
	s_waitcnt lgkmcnt(1)
	v_mov_b32_e32 v1, v20
.LBB20_13:                              ;   in Loop: Header=BB20_9 Depth=1
	s_or_b64 exec, exec, s[0:1]
	v_add_u32_e32 v0, 3, v2
	v_cmp_eq_u32_e32 vcc, v0, v1
	v_mov_b32_e32 v20, v19
	s_waitcnt lgkmcnt(0)
	v_mov_b32_e32 v0, v23
	s_and_saveexec_b64 s[0:1], vcc
	s_cbranch_execz .LBB20_15
; %bb.14:                               ;   in Loop: Header=BB20_9 Depth=1
	v_lshlrev_b32_e32 v0, 2, v3
	ds_read2st64_b32 v[0:1], v0 offset1:16
	s_waitcnt lgkmcnt(0)
	v_sub_u32_e32 v20, v2, v1
.LBB20_15:                              ;   in Loop: Header=BB20_9 Depth=1
	s_or_b64 exec, exec, s[0:1]
	v_mov_b32_e32 v1, s13
	v_add_co_u32_e32 v2, vcc, s12, v12
	s_min_u32 s6, s10, 0x400
	v_addc_co_u32_e32 v3, vcc, v1, v13, vcc
	v_cmp_gt_u32_e32 vcc, s6, v10
	s_and_saveexec_b64 s[0:1], vcc
	s_cbranch_execnz .LBB20_24
; %bb.16:                               ;   in Loop: Header=BB20_9 Depth=1
	s_or_b64 exec, exec, s[0:1]
	v_cmp_gt_u32_e64 s[0:1], s6, v5
	s_and_saveexec_b64 s[2:3], s[0:1]
	s_cbranch_execnz .LBB20_25
.LBB20_17:                              ;   in Loop: Header=BB20_9 Depth=1
	s_or_b64 exec, exec, s[2:3]
	v_cmp_gt_u32_e64 s[2:3], s6, v6
	s_and_saveexec_b64 s[4:5], s[2:3]
	s_cbranch_execnz .LBB20_26
.LBB20_18:                              ;   in Loop: Header=BB20_9 Depth=1
	s_or_b64 exec, exec, s[4:5]
	v_cmp_gt_u32_e64 s[4:5], s6, v7
	s_and_saveexec_b64 s[6:7], s[4:5]
	s_cbranch_execz .LBB20_20
.LBB20_19:                              ;   in Loop: Header=BB20_9 Depth=1
	global_store_dword v[2:3], v0, off offset:12
.LBB20_20:                              ;   in Loop: Header=BB20_9 Depth=1
	s_or_b64 exec, exec, s[6:7]
	v_mov_b32_e32 v1, s15
	v_add_co_u32_e64 v0, s[6:7], s14, v12
	v_addc_co_u32_e64 v1, s[6:7], v1, v13, s[6:7]
	s_and_saveexec_b64 s[6:7], vcc
	s_cbranch_execnz .LBB20_27
; %bb.21:                               ;   in Loop: Header=BB20_9 Depth=1
	s_or_b64 exec, exec, s[6:7]
	s_and_saveexec_b64 s[6:7], s[0:1]
	s_cbranch_execnz .LBB20_28
.LBB20_22:                              ;   in Loop: Header=BB20_9 Depth=1
	s_or_b64 exec, exec, s[6:7]
	s_and_saveexec_b64 s[0:1], s[2:3]
	s_cbranch_execnz .LBB20_29
.LBB20_23:                              ;   in Loop: Header=BB20_9 Depth=1
	s_or_b64 exec, exec, s[0:1]
	s_and_saveexec_b64 s[0:1], s[4:5]
	s_cbranch_execz .LBB20_8
	s_branch .LBB20_30
.LBB20_24:                              ;   in Loop: Header=BB20_9 Depth=1
	global_store_dword v[2:3], v21, off
	s_or_b64 exec, exec, s[0:1]
	v_cmp_gt_u32_e64 s[0:1], s6, v5
	s_and_saveexec_b64 s[2:3], s[0:1]
	s_cbranch_execz .LBB20_17
.LBB20_25:                              ;   in Loop: Header=BB20_9 Depth=1
	global_store_dword v[2:3], v22, off offset:4
	s_or_b64 exec, exec, s[2:3]
	v_cmp_gt_u32_e64 s[2:3], s6, v6
	s_and_saveexec_b64 s[4:5], s[2:3]
	s_cbranch_execz .LBB20_18
.LBB20_26:                              ;   in Loop: Header=BB20_9 Depth=1
	global_store_dword v[2:3], v23, off offset:8
	s_or_b64 exec, exec, s[4:5]
	v_cmp_gt_u32_e64 s[4:5], s6, v7
	s_and_saveexec_b64 s[6:7], s[4:5]
	s_cbranch_execnz .LBB20_19
	s_branch .LBB20_20
.LBB20_27:                              ;   in Loop: Header=BB20_9 Depth=1
	global_store_dword v[0:1], v18, off
	s_or_b64 exec, exec, s[6:7]
	s_and_saveexec_b64 s[6:7], s[0:1]
	s_cbranch_execz .LBB20_22
.LBB20_28:                              ;   in Loop: Header=BB20_9 Depth=1
	v_add_u32_e32 v2, 1, v17
	global_store_dword v[0:1], v2, off offset:4
	s_or_b64 exec, exec, s[6:7]
	s_and_saveexec_b64 s[0:1], s[2:3]
	s_cbranch_execz .LBB20_23
.LBB20_29:                              ;   in Loop: Header=BB20_9 Depth=1
	v_add_u32_e32 v2, 2, v19
	global_store_dword v[0:1], v2, off offset:8
	s_or_b64 exec, exec, s[0:1]
	s_and_saveexec_b64 s[0:1], s[4:5]
	s_cbranch_execz .LBB20_8
.LBB20_30:                              ;   in Loop: Header=BB20_9 Depth=1
	v_add_u32_e32 v2, 3, v20
	global_store_dword v[0:1], v2, off offset:12
	s_branch .LBB20_8
.LBB20_31:
	s_endpgm
	.section	.rodata,"a",@progbits
	.p2align	6, 0x0
	.amdhsa_kernel _Z30block_run_length_decode_kernelIfiLj256ELj4ELj4EEvPKT_PKT0_PS0_PS3_
		.amdhsa_group_segment_fixed_size 8192
		.amdhsa_private_segment_fixed_size 0
		.amdhsa_kernarg_size 32
		.amdhsa_user_sgpr_count 6
		.amdhsa_user_sgpr_private_segment_buffer 1
		.amdhsa_user_sgpr_dispatch_ptr 0
		.amdhsa_user_sgpr_queue_ptr 0
		.amdhsa_user_sgpr_kernarg_segment_ptr 1
		.amdhsa_user_sgpr_dispatch_id 0
		.amdhsa_user_sgpr_flat_scratch_init 0
		.amdhsa_user_sgpr_kernarg_preload_length 0
		.amdhsa_user_sgpr_kernarg_preload_offset 0
		.amdhsa_user_sgpr_private_segment_size 0
		.amdhsa_uses_dynamic_stack 0
		.amdhsa_system_sgpr_private_segment_wavefront_offset 0
		.amdhsa_system_sgpr_workgroup_id_x 1
		.amdhsa_system_sgpr_workgroup_id_y 0
		.amdhsa_system_sgpr_workgroup_id_z 0
		.amdhsa_system_sgpr_workgroup_info 0
		.amdhsa_system_vgpr_workitem_id 0
		.amdhsa_next_free_vgpr 24
		.amdhsa_next_free_sgpr 16
		.amdhsa_accum_offset 24
		.amdhsa_reserve_vcc 1
		.amdhsa_reserve_flat_scratch 0
		.amdhsa_float_round_mode_32 0
		.amdhsa_float_round_mode_16_64 0
		.amdhsa_float_denorm_mode_32 3
		.amdhsa_float_denorm_mode_16_64 3
		.amdhsa_dx10_clamp 1
		.amdhsa_ieee_mode 1
		.amdhsa_fp16_overflow 0
		.amdhsa_tg_split 0
		.amdhsa_exception_fp_ieee_invalid_op 0
		.amdhsa_exception_fp_denorm_src 0
		.amdhsa_exception_fp_ieee_div_zero 0
		.amdhsa_exception_fp_ieee_overflow 0
		.amdhsa_exception_fp_ieee_underflow 0
		.amdhsa_exception_fp_ieee_inexact 0
		.amdhsa_exception_int_div_zero 0
	.end_amdhsa_kernel
	.section	.text._Z30block_run_length_decode_kernelIfiLj256ELj4ELj4EEvPKT_PKT0_PS0_PS3_,"axG",@progbits,_Z30block_run_length_decode_kernelIfiLj256ELj4ELj4EEvPKT_PKT0_PS0_PS3_,comdat
.Lfunc_end20:
	.size	_Z30block_run_length_decode_kernelIfiLj256ELj4ELj4EEvPKT_PKT0_PS0_PS3_, .Lfunc_end20-_Z30block_run_length_decode_kernelIfiLj256ELj4ELj4EEvPKT_PKT0_PS0_PS3_
                                        ; -- End function
	.section	.AMDGPU.csdata,"",@progbits
; Kernel info:
; codeLenInByte = 1924
; NumSgprs: 20
; NumVgprs: 24
; NumAgprs: 0
; TotalNumVgprs: 24
; ScratchSize: 0
; MemoryBound: 0
; FloatMode: 240
; IeeeMode: 1
; LDSByteSize: 8192 bytes/workgroup (compile time only)
; SGPRBlocks: 2
; VGPRBlocks: 2
; NumSGPRsForWavesPerEU: 20
; NumVGPRsForWavesPerEU: 24
; AccumOffset: 24
; Occupancy: 8
; WaveLimiterHint : 0
; COMPUTE_PGM_RSRC2:SCRATCH_EN: 0
; COMPUTE_PGM_RSRC2:USER_SGPR: 6
; COMPUTE_PGM_RSRC2:TRAP_HANDLER: 0
; COMPUTE_PGM_RSRC2:TGID_X_EN: 1
; COMPUTE_PGM_RSRC2:TGID_Y_EN: 0
; COMPUTE_PGM_RSRC2:TGID_Z_EN: 0
; COMPUTE_PGM_RSRC2:TIDIG_COMP_CNT: 0
; COMPUTE_PGM_RSRC3_GFX90A:ACCUM_OFFSET: 5
; COMPUTE_PGM_RSRC3_GFX90A:TG_SPLIT: 0
	.section	.text._Z30block_run_length_decode_kernelIcxLj256ELj4ELj4EEvPKT_PKT0_PS0_PS3_,"axG",@progbits,_Z30block_run_length_decode_kernelIcxLj256ELj4ELj4EEvPKT_PKT0_PS0_PS3_,comdat
	.protected	_Z30block_run_length_decode_kernelIcxLj256ELj4ELj4EEvPKT_PKT0_PS0_PS3_ ; -- Begin function _Z30block_run_length_decode_kernelIcxLj256ELj4ELj4EEvPKT_PKT0_PS0_PS3_
	.globl	_Z30block_run_length_decode_kernelIcxLj256ELj4ELj4EEvPKT_PKT0_PS0_PS3_
	.p2align	8
	.type	_Z30block_run_length_decode_kernelIcxLj256ELj4ELj4EEvPKT_PKT0_PS0_PS3_,@function
_Z30block_run_length_decode_kernelIcxLj256ELj4ELj4EEvPKT_PKT0_PS0_PS3_: ; @_Z30block_run_length_decode_kernelIcxLj256ELj4ELj4EEvPKT_PKT0_PS0_PS3_
; %bb.0:
	s_load_dwordx8 s[8:15], s[4:5], 0x0
	v_lshlrev_b32_e32 v10, 2, v0
	v_lshl_or_b32 v12, s6, 10, v10
	v_mov_b32_e32 v13, 0
	v_lshlrev_b64 v[14:15], 3, v[12:13]
	s_waitcnt lgkmcnt(0)
	v_mov_b32_e32 v1, s11
	v_add_co_u32_e32 v16, vcc, s10, v14
	v_addc_co_u32_e32 v17, vcc, v1, v15, vcc
	global_load_dwordx4 v[6:9], v[16:17], off
	global_load_dwordx4 v[2:5], v[16:17], off offset:16
	global_load_dword v1, v12, s[8:9]
	s_waitcnt vmcnt(1)
	v_mbcnt_lo_u32_b32 v3, -1, 0
	v_mbcnt_hi_u32_b32 v3, -1, v3
	v_and_b32_e32 v9, 15, v3
	v_cmp_ne_u32_e32 vcc, 0, v9
	v_bfe_i32 v11, v3, 4, 1
	v_or_b32_e32 v7, 63, v0
	v_lshrrev_b32_e32 v5, 6, v0
	v_add_u32_e32 v13, v8, v6
	v_add3_u32 v4, v13, v2, v4
	s_nop 1
	v_mov_b32_dpp v13, v4 row_shr:1 row_mask:0xf bank_mask:0xf
	v_cndmask_b32_e32 v13, 0, v13, vcc
	v_add_u32_e32 v4, v13, v4
	v_cmp_lt_u32_e32 vcc, 1, v9
	s_nop 0
	v_mov_b32_dpp v13, v4 row_shr:2 row_mask:0xf bank_mask:0xf
	v_cndmask_b32_e32 v13, 0, v13, vcc
	v_add_u32_e32 v4, v4, v13
	v_cmp_lt_u32_e32 vcc, 3, v9
	;; [unrolled: 5-line block ×4, first 2 shown]
	s_nop 0
	v_mov_b32_dpp v9, v4 row_bcast:15 row_mask:0xf bank_mask:0xf
	v_and_b32_e32 v9, v11, v9
	v_add_u32_e32 v4, v4, v9
	s_nop 1
	v_mov_b32_dpp v9, v4 row_bcast:31 row_mask:0xf bank_mask:0xf
	v_cndmask_b32_e32 v9, 0, v9, vcc
	v_add_u32_e32 v4, v4, v9
	v_cmp_eq_u32_e32 vcc, v7, v0
	s_and_saveexec_b64 s[0:1], vcc
	s_cbranch_execz .LBB21_2
; %bb.1:
	v_lshlrev_b32_e32 v7, 2, v5
	ds_write_b32 v7, v4
.LBB21_2:
	s_or_b64 exec, exec, s[0:1]
	v_cmp_gt_u32_e32 vcc, 4, v0
	s_waitcnt lgkmcnt(0)
	s_barrier
	s_and_saveexec_b64 s[0:1], vcc
	s_cbranch_execz .LBB21_4
; %bb.3:
	ds_read_b32 v7, v10
	v_and_b32_e32 v9, 3, v3
	v_cmp_ne_u32_e32 vcc, 0, v9
	s_waitcnt lgkmcnt(0)
	v_mov_b32_dpp v11, v7 row_shr:1 row_mask:0xf bank_mask:0xf
	v_cndmask_b32_e32 v11, 0, v11, vcc
	v_add_u32_e32 v7, v11, v7
	v_cmp_lt_u32_e32 vcc, 1, v9
	s_nop 0
	v_mov_b32_dpp v11, v7 row_shr:2 row_mask:0xf bank_mask:0xf
	v_cndmask_b32_e32 v9, 0, v11, vcc
	v_add_u32_e32 v7, v7, v9
	ds_write_b32 v10, v7
.LBB21_4:
	s_or_b64 exec, exec, s[0:1]
	v_cmp_lt_u32_e32 vcc, 63, v0
	v_mov_b32_e32 v7, 0
	v_mov_b32_e32 v9, 0
	s_waitcnt lgkmcnt(0)
	s_barrier
	s_and_saveexec_b64 s[0:1], vcc
	s_cbranch_execz .LBB21_6
; %bb.5:
	v_lshl_add_u32 v5, v5, 2, -4
	ds_read_b32 v9, v5
.LBB21_6:
	s_or_b64 exec, exec, s[0:1]
	v_add_u32_e32 v5, -1, v3
	v_and_b32_e32 v11, 64, v3
	v_cmp_lt_i32_e32 vcc, v5, v11
	v_cndmask_b32_e32 v5, v5, v3, vcc
	s_waitcnt lgkmcnt(0)
	v_add_u32_e32 v4, v9, v4
	v_lshlrev_b32_e32 v5, 2, v5
	ds_bpermute_b32 v4, v5, v4
	v_cmp_eq_u32_e32 vcc, 0, v3
	s_waitcnt lgkmcnt(0)
	v_cndmask_b32_e32 v3, v4, v9, vcc
	ds_read_b32 v4, v7 offset:12
	v_cmp_ne_u32_e32 vcc, 0, v0
	v_cndmask_b32_e32 v0, 0, v3, vcc
	v_add_u32_e32 v3, v0, v6
	v_lshlrev_b32_e32 v6, 2, v10
	s_waitcnt lgkmcnt(0)
	v_cmp_eq_u32_e32 vcc, 0, v4
	v_add_u32_e32 v5, v3, v8
	v_readfirstlane_b32 s10, v4
	v_add_u32_e32 v7, 0x400, v6
	s_and_b64 vcc, exec, vcc
	v_add_u32_e32 v2, v5, v2
	s_barrier
	ds_write2_b32 v7, v0, v3 offset1:1
	v_add_u32_e32 v0, 0x408, v6
	s_waitcnt vmcnt(0)
	ds_write_b32 v10, v1
	ds_write2_b32 v0, v5, v2 offset1:1
	s_waitcnt lgkmcnt(0)
	s_barrier
	s_cbranch_vccnz .LBB21_31
; %bb.7:
	v_mov_b32_e32 v0, s13
	v_add_co_u32_e32 v11, vcc, s12, v12
	v_mov_b32_e32 v1, 0
	v_addc_co_u32_e32 v13, vcc, 0, v0, vcc
	ds_read_b32 v16, v1 offset:3072
	v_mov_b32_e32 v0, s15
	v_add_co_u32_e32 v2, vcc, s14, v14
	v_addc_co_u32_e32 v0, vcc, v15, v0, vcc
	v_add_co_u32_e32 v2, vcc, 16, v2
	v_or_b32_e32 v17, 1, v12
	v_or_b32_e32 v18, 2, v12
	v_or_b32_e32 v19, 3, v12
	v_addc_co_u32_e32 v3, vcc, 0, v0, vcc
	s_mov_b64 s[6:7], 0
	v_mov_b32_e32 v20, 0x201
	v_mov_b32_e32 v21, 0x400
	;; [unrolled: 1-line block ×5, first 2 shown]
	s_mov_b32 s11, s10
	s_branch .LBB21_9
.LBB21_8:                               ;   in Loop: Header=BB21_9 Depth=1
	s_or_b64 exec, exec, s[0:1]
	s_add_u32 s6, s6, 0x400
	s_addc_u32 s7, s7, 0
	s_addk_i32 s11, 0xfc00
	v_add_co_u32_e32 v2, vcc, 0x2000, v2
	s_cmp_lt_u32 s6, s10
	v_addc_co_u32_e32 v3, vcc, 0, v3, vcc
	s_cbranch_scc0 .LBB21_31
.LBB21_9:                               ; =>This Inner Loop Header: Depth=1
	v_add_co_u32_e32 v14, vcc, s6, v10
	s_waitcnt lgkmcnt(0)
	v_cmp_gt_u32_e32 vcc, v16, v14
	v_cndmask_b32_e32 v4, v23, v24, vcc
	v_lshlrev_b32_e32 v5, 2, v4
	ds_read_b32 v5, v5 offset:1024
	v_cndmask_b32_e64 v0, v20, 0, vcc
	v_cndmask_b32_e32 v6, v21, v22, vcc
	v_or_b32_e32 v7, 1, v4
	s_waitcnt lgkmcnt(0)
	v_cmp_gt_u32_e32 vcc, v5, v14
	v_cndmask_b32_e32 v0, v7, v0, vcc
	v_cndmask_b32_e32 v4, v6, v4, vcc
	v_sub_u32_e32 v5, v4, v0
	v_lshrrev_b16_e32 v6, 15, v5
	v_add_u16_e32 v5, v5, v6
	v_ashrrev_i16_e32 v5, 1, v5
	v_add_u32_sdwa v5, v0, sext(v5) dst_sel:DWORD dst_unused:UNUSED_PAD src0_sel:DWORD src1_sel:WORD_0
	v_min_i32_e32 v5, 0x3ff, v5
	v_lshlrev_b32_e32 v6, 2, v5
	ds_read_b32 v6, v6 offset:1024
	v_add_u32_e32 v7, 1, v5
	s_waitcnt lgkmcnt(0)
	v_cmp_gt_u32_e32 vcc, v6, v14
	v_cndmask_b32_e32 v0, v7, v0, vcc
	v_cndmask_b32_e32 v4, v4, v5, vcc
	v_sub_u32_e32 v5, v4, v0
	v_lshrrev_b16_e32 v6, 15, v5
	v_add_u16_e32 v5, v5, v6
	v_ashrrev_i16_e32 v5, 1, v5
	v_add_u32_sdwa v5, v0, sext(v5) dst_sel:DWORD dst_unused:UNUSED_PAD src0_sel:DWORD src1_sel:WORD_0
	v_min_i32_e32 v5, 0x3ff, v5
	v_lshlrev_b32_e32 v6, 2, v5
	ds_read_b32 v6, v6 offset:1024
	v_add_u32_e32 v7, 1, v5
	;; [unrolled: 13-line block ×9, first 2 shown]
	s_waitcnt lgkmcnt(0)
	v_cmp_gt_u32_e32 vcc, v5, v14
	v_cndmask_b32_e32 v15, v4, v0, vcc
	v_lshlrev_b32_e32 v6, 2, v15
	v_add_u32_e32 v0, 0x3fc, v6
	ds_read2_b32 v[8:9], v0 offset1:1
	v_add_u32_e32 v4, -1, v15
	ds_read_u8 v26, v4
	v_add_u32_e32 v0, 1, v14
	s_waitcnt lgkmcnt(1)
	v_sub_u32_e32 v4, 0, v8
	v_cmp_eq_u32_e32 vcc, v0, v9
	v_add_co_u32_e64 v0, s[0:1], v14, v4
	v_pk_mov_b32 v[4:5], v[0:1], v[0:1] op_sel:[0,1]
	s_waitcnt lgkmcnt(0)
	v_mov_b32_e32 v25, v26
	s_and_saveexec_b64 s[0:1], vcc
	s_cbranch_execz .LBB21_11
; %bb.10:                               ;   in Loop: Header=BB21_9 Depth=1
	ds_read_u8 v25, v15
	ds_read_b32 v6, v6 offset:1028
	v_add_u32_e32 v5, 1, v15
	v_sub_u32_e32 v4, 0, v9
	v_add_co_u32_e32 v4, vcc, v14, v4
	v_mov_b32_e32 v15, v5
	s_waitcnt lgkmcnt(0)
	v_mov_b32_e32 v9, v6
.LBB21_11:                              ;   in Loop: Header=BB21_9 Depth=1
	s_or_b64 exec, exec, s[0:1]
	v_add_u32_e32 v6, 2, v14
	v_cmp_eq_u32_e32 vcc, v6, v9
	v_pk_mov_b32 v[6:7], v[4:5], v[4:5] op_sel:[0,1]
	v_mov_b32_e32 v5, v25
	s_and_saveexec_b64 s[0:1], vcc
	s_cbranch_execz .LBB21_13
; %bb.12:                               ;   in Loop: Header=BB21_9 Depth=1
	v_add_u32_e32 v7, 1, v15
	v_lshlrev_b32_e32 v6, 2, v7
	ds_read_u8 v5, v15
	ds_read_b32 v8, v6 offset:1024
	v_sub_u32_e32 v6, 0, v9
	v_add_co_u32_e32 v6, vcc, v14, v6
	v_mov_b32_e32 v15, v7
	s_waitcnt lgkmcnt(0)
	v_mov_b32_e32 v9, v8
.LBB21_13:                              ;   in Loop: Header=BB21_9 Depth=1
	s_or_b64 exec, exec, s[0:1]
	v_add_u32_e32 v8, 3, v14
	v_cmp_eq_u32_e32 vcc, v8, v9
	v_pk_mov_b32 v[8:9], v[6:7], v[6:7] op_sel:[0,1]
	v_mov_b32_e32 v7, v5
	s_and_saveexec_b64 s[0:1], vcc
	s_cbranch_execz .LBB21_15
; %bb.14:                               ;   in Loop: Header=BB21_9 Depth=1
	v_lshlrev_b32_e32 v7, 2, v15
	ds_read_b32 v8, v7 offset:1024
	ds_read_u8 v7, v15
	s_waitcnt lgkmcnt(1)
	v_sub_u32_e32 v8, 0, v8
	v_add_co_u32_e32 v8, vcc, v14, v8
.LBB21_15:                              ;   in Loop: Header=BB21_9 Depth=1
	s_or_b64 exec, exec, s[0:1]
	s_min_u32 s12, s11, 0x400
	v_mov_b32_e32 v9, s7
	v_add_co_u32_e32 v14, vcc, s6, v11
	v_addc_co_u32_e32 v15, vcc, v13, v9, vcc
	v_cmp_gt_u32_e64 s[4:5], s12, v12
	s_and_saveexec_b64 s[0:1], s[4:5]
	s_cbranch_execnz .LBB21_23
; %bb.16:                               ;   in Loop: Header=BB21_9 Depth=1
	s_or_b64 exec, exec, s[0:1]
	v_cmp_gt_u32_e64 s[2:3], s12, v17
	s_and_saveexec_b64 s[0:1], s[2:3]
	s_cbranch_execnz .LBB21_24
.LBB21_17:                              ;   in Loop: Header=BB21_9 Depth=1
	s_or_b64 exec, exec, s[0:1]
	v_cmp_gt_u32_e64 s[0:1], s12, v18
	s_and_saveexec_b64 s[8:9], s[0:1]
	s_cbranch_execnz .LBB21_25
.LBB21_18:                              ;   in Loop: Header=BB21_9 Depth=1
	s_or_b64 exec, exec, s[8:9]
	v_cmp_gt_u32_e32 vcc, s12, v19
	s_and_saveexec_b64 s[8:9], vcc
	s_cbranch_execnz .LBB21_26
.LBB21_19:                              ;   in Loop: Header=BB21_9 Depth=1
	s_or_b64 exec, exec, s[8:9]
	s_and_saveexec_b64 s[8:9], s[4:5]
	s_cbranch_execnz .LBB21_27
.LBB21_20:                              ;   in Loop: Header=BB21_9 Depth=1
	s_or_b64 exec, exec, s[8:9]
	s_and_saveexec_b64 s[4:5], s[2:3]
	s_cbranch_execnz .LBB21_28
.LBB21_21:                              ;   in Loop: Header=BB21_9 Depth=1
	s_or_b64 exec, exec, s[4:5]
	s_and_saveexec_b64 s[2:3], s[0:1]
	s_cbranch_execnz .LBB21_29
.LBB21_22:                              ;   in Loop: Header=BB21_9 Depth=1
	s_or_b64 exec, exec, s[2:3]
	s_and_saveexec_b64 s[0:1], vcc
	s_cbranch_execz .LBB21_8
	s_branch .LBB21_30
.LBB21_23:                              ;   in Loop: Header=BB21_9 Depth=1
	global_store_byte v[14:15], v26, off
	s_or_b64 exec, exec, s[0:1]
	v_cmp_gt_u32_e64 s[2:3], s12, v17
	s_and_saveexec_b64 s[0:1], s[2:3]
	s_cbranch_execz .LBB21_17
.LBB21_24:                              ;   in Loop: Header=BB21_9 Depth=1
	global_store_byte v[14:15], v25, off offset:1
	s_or_b64 exec, exec, s[0:1]
	v_cmp_gt_u32_e64 s[0:1], s12, v18
	s_and_saveexec_b64 s[8:9], s[0:1]
	s_cbranch_execz .LBB21_18
.LBB21_25:                              ;   in Loop: Header=BB21_9 Depth=1
	global_store_byte v[14:15], v5, off offset:2
	s_or_b64 exec, exec, s[8:9]
	v_cmp_gt_u32_e32 vcc, s12, v19
	s_and_saveexec_b64 s[8:9], vcc
	s_cbranch_execz .LBB21_19
.LBB21_26:                              ;   in Loop: Header=BB21_9 Depth=1
	s_waitcnt lgkmcnt(0)
	global_store_byte v[14:15], v7, off offset:3
	s_or_b64 exec, exec, s[8:9]
	s_and_saveexec_b64 s[8:9], s[4:5]
	s_cbranch_execz .LBB21_20
.LBB21_27:                              ;   in Loop: Header=BB21_9 Depth=1
	global_store_dwordx2 v[2:3], v[0:1], off offset:-16
	s_or_b64 exec, exec, s[8:9]
	s_and_saveexec_b64 s[4:5], s[2:3]
	s_cbranch_execz .LBB21_21
.LBB21_28:                              ;   in Loop: Header=BB21_9 Depth=1
	v_add_u32_e32 v0, 1, v4
	global_store_dwordx2 v[2:3], v[0:1], off offset:-8
	s_or_b64 exec, exec, s[4:5]
	s_and_saveexec_b64 s[2:3], s[0:1]
	s_cbranch_execz .LBB21_22
.LBB21_29:                              ;   in Loop: Header=BB21_9 Depth=1
	v_add_u32_e32 v0, 2, v6
	global_store_dwordx2 v[2:3], v[0:1], off
	s_or_b64 exec, exec, s[2:3]
	s_and_saveexec_b64 s[0:1], vcc
	s_cbranch_execz .LBB21_8
.LBB21_30:                              ;   in Loop: Header=BB21_9 Depth=1
	v_add_u32_e32 v0, 3, v8
	global_store_dwordx2 v[2:3], v[0:1], off offset:8
	s_branch .LBB21_8
.LBB21_31:
	s_endpgm
	.section	.rodata,"a",@progbits
	.p2align	6, 0x0
	.amdhsa_kernel _Z30block_run_length_decode_kernelIcxLj256ELj4ELj4EEvPKT_PKT0_PS0_PS3_
		.amdhsa_group_segment_fixed_size 5120
		.amdhsa_private_segment_fixed_size 0
		.amdhsa_kernarg_size 32
		.amdhsa_user_sgpr_count 6
		.amdhsa_user_sgpr_private_segment_buffer 1
		.amdhsa_user_sgpr_dispatch_ptr 0
		.amdhsa_user_sgpr_queue_ptr 0
		.amdhsa_user_sgpr_kernarg_segment_ptr 1
		.amdhsa_user_sgpr_dispatch_id 0
		.amdhsa_user_sgpr_flat_scratch_init 0
		.amdhsa_user_sgpr_kernarg_preload_length 0
		.amdhsa_user_sgpr_kernarg_preload_offset 0
		.amdhsa_user_sgpr_private_segment_size 0
		.amdhsa_uses_dynamic_stack 0
		.amdhsa_system_sgpr_private_segment_wavefront_offset 0
		.amdhsa_system_sgpr_workgroup_id_x 1
		.amdhsa_system_sgpr_workgroup_id_y 0
		.amdhsa_system_sgpr_workgroup_id_z 0
		.amdhsa_system_sgpr_workgroup_info 0
		.amdhsa_system_vgpr_workitem_id 0
		.amdhsa_next_free_vgpr 27
		.amdhsa_next_free_sgpr 16
		.amdhsa_accum_offset 28
		.amdhsa_reserve_vcc 1
		.amdhsa_reserve_flat_scratch 0
		.amdhsa_float_round_mode_32 0
		.amdhsa_float_round_mode_16_64 0
		.amdhsa_float_denorm_mode_32 3
		.amdhsa_float_denorm_mode_16_64 3
		.amdhsa_dx10_clamp 1
		.amdhsa_ieee_mode 1
		.amdhsa_fp16_overflow 0
		.amdhsa_tg_split 0
		.amdhsa_exception_fp_ieee_invalid_op 0
		.amdhsa_exception_fp_denorm_src 0
		.amdhsa_exception_fp_ieee_div_zero 0
		.amdhsa_exception_fp_ieee_overflow 0
		.amdhsa_exception_fp_ieee_underflow 0
		.amdhsa_exception_fp_ieee_inexact 0
		.amdhsa_exception_int_div_zero 0
	.end_amdhsa_kernel
	.section	.text._Z30block_run_length_decode_kernelIcxLj256ELj4ELj4EEvPKT_PKT0_PS0_PS3_,"axG",@progbits,_Z30block_run_length_decode_kernelIcxLj256ELj4ELj4EEvPKT_PKT0_PS0_PS3_,comdat
.Lfunc_end21:
	.size	_Z30block_run_length_decode_kernelIcxLj256ELj4ELj4EEvPKT_PKT0_PS0_PS3_, .Lfunc_end21-_Z30block_run_length_decode_kernelIcxLj256ELj4ELj4EEvPKT_PKT0_PS0_PS3_
                                        ; -- End function
	.section	.AMDGPU.csdata,"",@progbits
; Kernel info:
; codeLenInByte = 1968
; NumSgprs: 20
; NumVgprs: 27
; NumAgprs: 0
; TotalNumVgprs: 27
; ScratchSize: 0
; MemoryBound: 0
; FloatMode: 240
; IeeeMode: 1
; LDSByteSize: 5120 bytes/workgroup (compile time only)
; SGPRBlocks: 2
; VGPRBlocks: 3
; NumSGPRsForWavesPerEU: 20
; NumVGPRsForWavesPerEU: 27
; AccumOffset: 28
; Occupancy: 8
; WaveLimiterHint : 0
; COMPUTE_PGM_RSRC2:SCRATCH_EN: 0
; COMPUTE_PGM_RSRC2:USER_SGPR: 6
; COMPUTE_PGM_RSRC2:TRAP_HANDLER: 0
; COMPUTE_PGM_RSRC2:TGID_X_EN: 1
; COMPUTE_PGM_RSRC2:TGID_Y_EN: 0
; COMPUTE_PGM_RSRC2:TGID_Z_EN: 0
; COMPUTE_PGM_RSRC2:TIDIG_COMP_CNT: 0
; COMPUTE_PGM_RSRC3_GFX90A:ACCUM_OFFSET: 6
; COMPUTE_PGM_RSRC3_GFX90A:TG_SPLIT: 0
	.section	.text._Z30block_run_length_decode_kernelIdcLj256ELj4ELj4EEvPKT_PKT0_PS0_PS3_,"axG",@progbits,_Z30block_run_length_decode_kernelIdcLj256ELj4ELj4EEvPKT_PKT0_PS0_PS3_,comdat
	.protected	_Z30block_run_length_decode_kernelIdcLj256ELj4ELj4EEvPKT_PKT0_PS0_PS3_ ; -- Begin function _Z30block_run_length_decode_kernelIdcLj256ELj4ELj4EEvPKT_PKT0_PS0_PS3_
	.globl	_Z30block_run_length_decode_kernelIdcLj256ELj4ELj4EEvPKT_PKT0_PS0_PS3_
	.p2align	8
	.type	_Z30block_run_length_decode_kernelIdcLj256ELj4ELj4EEvPKT_PKT0_PS0_PS3_,@function
_Z30block_run_length_decode_kernelIdcLj256ELj4ELj4EEvPKT_PKT0_PS0_PS3_: ; @_Z30block_run_length_decode_kernelIdcLj256ELj4ELj4EEvPKT_PKT0_PS0_PS3_
; %bb.0:
	s_load_dwordx8 s[8:15], s[4:5], 0x0
	v_lshlrev_b32_e32 v10, 2, v0
	v_lshl_or_b32 v12, s6, 10, v10
	v_mov_b32_e32 v13, 0
	v_lshlrev_b64 v[14:15], 3, v[12:13]
	s_waitcnt lgkmcnt(0)
	global_load_dword v1, v12, s[10:11]
	v_mov_b32_e32 v2, s9
	v_add_co_u32_e32 v16, vcc, s8, v14
	v_addc_co_u32_e32 v17, vcc, v2, v15, vcc
	global_load_dwordx4 v[2:5], v[16:17], off offset:16
	global_load_dwordx4 v[6:9], v[16:17], off
	v_mbcnt_lo_u32_b32 v11, -1, 0
	v_mbcnt_hi_u32_b32 v11, -1, v11
	v_and_b32_e32 v17, 15, v11
	v_cmp_ne_u32_e32 vcc, 0, v17
	v_bfe_i32 v19, v11, 4, 1
	v_or_b32_e32 v18, 63, v0
	v_lshrrev_b32_e32 v16, 6, v0
	s_waitcnt vmcnt(2)
	v_bfe_i32 v13, v1, 16, 8
	v_ashrrev_i32_e32 v20, 24, v1
	v_add_u32_sdwa v21, sext(v1), sext(v1) dst_sel:DWORD dst_unused:UNUSED_PAD src0_sel:BYTE_1 src1_sel:BYTE_0
	v_add3_u32 v20, v21, v13, v20
	s_nop 1
	v_mov_b32_dpp v21, v20 row_shr:1 row_mask:0xf bank_mask:0xf
	v_cndmask_b32_e32 v21, 0, v21, vcc
	v_add_u32_e32 v20, v21, v20
	v_cmp_lt_u32_e32 vcc, 1, v17
	s_nop 0
	v_mov_b32_dpp v21, v20 row_shr:2 row_mask:0xf bank_mask:0xf
	v_cndmask_b32_e32 v21, 0, v21, vcc
	v_add_u32_e32 v20, v20, v21
	v_cmp_lt_u32_e32 vcc, 3, v17
	s_nop 0
	v_mov_b32_dpp v21, v20 row_shr:4 row_mask:0xf bank_mask:0xf
	v_cndmask_b32_e32 v21, 0, v21, vcc
	v_add_u32_e32 v20, v20, v21
	v_cmp_lt_u32_e32 vcc, 7, v17
	s_nop 0
	v_mov_b32_dpp v21, v20 row_shr:8 row_mask:0xf bank_mask:0xf
	v_cndmask_b32_e32 v17, 0, v21, vcc
	v_add_u32_e32 v17, v20, v17
	v_cmp_lt_u32_e32 vcc, 31, v11
	s_nop 0
	v_mov_b32_dpp v20, v17 row_bcast:15 row_mask:0xf bank_mask:0xf
	v_and_b32_e32 v19, v19, v20
	v_add_u32_e32 v17, v17, v19
	s_nop 1
	v_mov_b32_dpp v19, v17 row_bcast:31 row_mask:0xf bank_mask:0xf
	v_cndmask_b32_e32 v19, 0, v19, vcc
	v_add_u32_e32 v17, v17, v19
	v_cmp_eq_u32_e32 vcc, v18, v0
	s_and_saveexec_b64 s[0:1], vcc
	s_cbranch_execz .LBB22_2
; %bb.1:
	v_lshlrev_b32_e32 v18, 2, v16
	ds_write_b32 v18, v17
.LBB22_2:
	s_or_b64 exec, exec, s[0:1]
	v_cmp_gt_u32_e32 vcc, 4, v0
	s_waitcnt lgkmcnt(0)
	s_barrier
	s_and_saveexec_b64 s[0:1], vcc
	s_cbranch_execz .LBB22_4
; %bb.3:
	ds_read_b32 v18, v10
	v_and_b32_e32 v19, 3, v11
	v_cmp_ne_u32_e32 vcc, 0, v19
	s_waitcnt lgkmcnt(0)
	v_mov_b32_dpp v20, v18 row_shr:1 row_mask:0xf bank_mask:0xf
	v_cndmask_b32_e32 v20, 0, v20, vcc
	v_add_u32_e32 v18, v20, v18
	v_cmp_lt_u32_e32 vcc, 1, v19
	s_nop 0
	v_mov_b32_dpp v20, v18 row_shr:2 row_mask:0xf bank_mask:0xf
	v_cndmask_b32_e32 v19, 0, v20, vcc
	v_add_u32_e32 v18, v18, v19
	ds_write_b32 v10, v18
.LBB22_4:
	s_or_b64 exec, exec, s[0:1]
	v_cmp_lt_u32_e32 vcc, 63, v0
	v_mov_b32_e32 v18, 0
	v_mov_b32_e32 v19, 0
	s_waitcnt lgkmcnt(0)
	s_barrier
	s_and_saveexec_b64 s[0:1], vcc
	s_cbranch_execz .LBB22_6
; %bb.5:
	v_lshl_add_u32 v16, v16, 2, -4
	ds_read_b32 v19, v16
.LBB22_6:
	s_or_b64 exec, exec, s[0:1]
	s_waitcnt lgkmcnt(0)
	v_add_u32_e32 v16, v19, v17
	v_add_u32_e32 v17, -1, v11
	v_and_b32_e32 v20, 64, v11
	v_cmp_lt_i32_e32 vcc, v17, v20
	v_cndmask_b32_e32 v17, v17, v11, vcc
	v_lshlrev_b32_e32 v17, 2, v17
	ds_bpermute_b32 v16, v17, v16
	v_cmp_eq_u32_e32 vcc, 0, v11
	v_lshlrev_b32_e32 v17, 3, v10
	s_waitcnt lgkmcnt(0)
	v_cndmask_b32_e32 v11, v16, v19, vcc
	ds_read_b32 v16, v18 offset:12
	v_cmp_ne_u32_e32 vcc, 0, v0
	v_cndmask_b32_e32 v0, 0, v11, vcc
	v_add_u32_sdwa v11, v0, sext(v1) dst_sel:DWORD dst_unused:UNUSED_PAD src0_sel:DWORD src1_sel:BYTE_0
	v_add_u32_sdwa v1, v11, sext(v1) dst_sel:DWORD dst_unused:UNUSED_PAD src0_sel:DWORD src1_sel:BYTE_1
	s_waitcnt lgkmcnt(0)
	v_cmp_eq_u32_e32 vcc, 0, v16
	v_readfirstlane_b32 s10, v16
	v_lshlrev_b32_e32 v18, 2, v10
	s_and_b64 vcc, exec, vcc
	v_add_u32_e32 v13, v1, v13
	s_barrier
	v_or_b32_e32 v19, 0x2000, v18
	s_waitcnt vmcnt(0)
	ds_write2_b64 v17, v[6:7], v[8:9] offset1:1
	ds_write2_b32 v19, v0, v11 offset1:1
	ds_write_b32 v18, v1 offset:8200
	ds_write2_b64 v17, v[2:3], v[4:5] offset0:2 offset1:3
	ds_write_b32 v18, v13 offset:8204
	s_waitcnt lgkmcnt(0)
	s_barrier
	s_cbranch_vccnz .LBB22_31
; %bb.7:
	v_mov_b32_e32 v0, s15
	v_add_co_u32_e32 v5, vcc, s14, v12
	v_addc_co_u32_e32 v11, vcc, 0, v0, vcc
	v_mov_b32_e32 v0, 0
	ds_read_b32 v13, v0 offset:10240
	v_mov_b32_e32 v0, s13
	v_add_co_u32_e32 v1, vcc, s12, v14
	v_addc_co_u32_e32 v2, vcc, v15, v0, vcc
	v_add_co_u32_e32 v0, vcc, 16, v1
	v_or_b32_e32 v22, 1, v12
	v_or_b32_e32 v23, 2, v12
	;; [unrolled: 1-line block ×3, first 2 shown]
	v_addc_co_u32_e32 v1, vcc, 0, v2, vcc
	s_mov_b64 s[8:9], 0
	v_mov_b32_e32 v25, 0x201
	v_mov_b32_e32 v26, 0x400
	;; [unrolled: 1-line block ×5, first 2 shown]
	s_mov_b32 s11, s10
	s_branch .LBB22_9
.LBB22_8:                               ;   in Loop: Header=BB22_9 Depth=1
	s_or_b64 exec, exec, s[0:1]
	s_add_u32 s8, s8, 0x400
	s_addc_u32 s9, s9, 0
	s_addk_i32 s11, 0xfc00
	v_add_co_u32_e32 v0, vcc, 0x2000, v0
	s_cmp_lt_u32 s8, s10
	v_addc_co_u32_e32 v1, vcc, 0, v1, vcc
	s_cbranch_scc0 .LBB22_31
.LBB22_9:                               ; =>This Inner Loop Header: Depth=1
	v_add_co_u32_e32 v30, vcc, s8, v10
	s_waitcnt lgkmcnt(0)
	v_cmp_gt_u32_e32 vcc, v13, v30
	v_cndmask_b32_e32 v3, v28, v29, vcc
	v_lshlrev_b32_e32 v4, 2, v3
	ds_read_b32 v4, v4 offset:8192
	v_cndmask_b32_e64 v2, v25, 0, vcc
	v_cndmask_b32_e32 v6, v26, v27, vcc
	v_or_b32_e32 v7, 1, v3
	s_waitcnt lgkmcnt(0)
	v_cmp_gt_u32_e32 vcc, v4, v30
	v_cndmask_b32_e32 v2, v7, v2, vcc
	v_cndmask_b32_e32 v3, v6, v3, vcc
	v_sub_u32_e32 v4, v3, v2
	v_lshrrev_b16_e32 v6, 15, v4
	v_add_u16_e32 v4, v4, v6
	v_ashrrev_i16_e32 v4, 1, v4
	v_add_u32_sdwa v4, v2, sext(v4) dst_sel:DWORD dst_unused:UNUSED_PAD src0_sel:DWORD src1_sel:WORD_0
	v_min_i32_e32 v4, 0x3ff, v4
	v_lshlrev_b32_e32 v6, 2, v4
	ds_read_b32 v6, v6 offset:8192
	v_add_u32_e32 v7, 1, v4
	s_waitcnt lgkmcnt(0)
	v_cmp_gt_u32_e32 vcc, v6, v30
	v_cndmask_b32_e32 v2, v7, v2, vcc
	v_cndmask_b32_e32 v3, v3, v4, vcc
	v_sub_u32_e32 v4, v3, v2
	v_lshrrev_b16_e32 v6, 15, v4
	v_add_u16_e32 v4, v4, v6
	v_ashrrev_i16_e32 v4, 1, v4
	v_add_u32_sdwa v4, v2, sext(v4) dst_sel:DWORD dst_unused:UNUSED_PAD src0_sel:DWORD src1_sel:WORD_0
	v_min_i32_e32 v4, 0x3ff, v4
	v_lshlrev_b32_e32 v6, 2, v4
	ds_read_b32 v6, v6 offset:8192
	v_add_u32_e32 v7, 1, v4
	;; [unrolled: 13-line block ×9, first 2 shown]
	s_waitcnt lgkmcnt(0)
	v_cmp_gt_u32_e32 vcc, v4, v30
	v_cndmask_b32_e32 v31, v3, v2, vcc
	v_lshlrev_b32_e32 v4, 2, v31
	v_add_u32_e32 v2, 0x1ffc, v4
	v_lshl_add_u32 v6, v31, 3, -8
	ds_read2_b32 v[2:3], v2 offset1:1
	ds_read_b64 v[14:15], v6
	v_add_u32_e32 v6, 1, v30
	s_waitcnt lgkmcnt(1)
	v_cmp_eq_u32_e32 vcc, v6, v3
	v_mov_b32_e32 v6, v2
	s_waitcnt lgkmcnt(0)
	v_pk_mov_b32 v[16:17], v[14:15], v[14:15] op_sel:[0,1]
	s_and_saveexec_b64 s[0:1], vcc
	s_cbranch_execz .LBB22_11
; %bb.10:                               ;   in Loop: Header=BB22_9 Depth=1
	v_lshlrev_b32_e32 v6, 3, v31
	ds_read_b32 v4, v4 offset:8196
	ds_read_b64 v[16:17], v6
	v_add_u32_e32 v31, 1, v31
	v_mov_b32_e32 v6, v3
	s_waitcnt lgkmcnt(1)
	v_mov_b32_e32 v3, v4
.LBB22_11:                              ;   in Loop: Header=BB22_9 Depth=1
	s_or_b64 exec, exec, s[0:1]
	v_sub_u32_e32 v4, 0, v6
	v_add_co_u32_e32 v4, vcc, v30, v4
	v_add_u32_e32 v6, 2, v30
	v_cmp_eq_u32_e32 vcc, v6, v3
	v_pk_mov_b32 v[6:7], v[4:5], v[4:5] op_sel:[0,1]
	s_waitcnt lgkmcnt(0)
	v_pk_mov_b32 v[18:19], v[16:17], v[16:17] op_sel:[0,1]
	s_and_saveexec_b64 s[0:1], vcc
	s_cbranch_execz .LBB22_13
; %bb.12:                               ;   in Loop: Header=BB22_9 Depth=1
	v_add_u32_e32 v7, 1, v31
	v_lshlrev_b32_e32 v8, 3, v31
	v_lshlrev_b32_e32 v6, 2, v7
	ds_read_b64 v[18:19], v8
	ds_read_b32 v8, v6 offset:8192
	v_sub_u32_e32 v3, 0, v3
	v_add_co_u32_e32 v6, vcc, v30, v3
	v_mov_b32_e32 v31, v7
	s_waitcnt lgkmcnt(0)
	v_mov_b32_e32 v3, v8
.LBB22_13:                              ;   in Loop: Header=BB22_9 Depth=1
	s_or_b64 exec, exec, s[0:1]
	v_add_u32_e32 v8, 3, v30
	v_cmp_eq_u32_e32 vcc, v8, v3
	v_pk_mov_b32 v[8:9], v[6:7], v[6:7] op_sel:[0,1]
	v_pk_mov_b32 v[20:21], v[18:19], v[18:19] op_sel:[0,1]
	s_and_saveexec_b64 s[0:1], vcc
	s_cbranch_execz .LBB22_15
; %bb.14:                               ;   in Loop: Header=BB22_9 Depth=1
	v_lshlrev_b32_e32 v3, 2, v31
	ds_read_b32 v3, v3 offset:8192
	v_lshlrev_b32_e32 v7, 3, v31
	ds_read_b64 v[20:21], v7
	s_waitcnt lgkmcnt(1)
	v_sub_u32_e32 v3, 0, v3
	v_add_co_u32_e32 v8, vcc, v30, v3
.LBB22_15:                              ;   in Loop: Header=BB22_9 Depth=1
	s_or_b64 exec, exec, s[0:1]
	s_min_u32 s6, s11, 0x400
	v_cmp_gt_u32_e32 vcc, s6, v12
	s_and_saveexec_b64 s[0:1], vcc
	s_cbranch_execnz .LBB22_24
; %bb.16:                               ;   in Loop: Header=BB22_9 Depth=1
	s_or_b64 exec, exec, s[0:1]
	v_cmp_gt_u32_e64 s[0:1], s6, v22
	s_and_saveexec_b64 s[2:3], s[0:1]
	s_cbranch_execnz .LBB22_25
.LBB22_17:                              ;   in Loop: Header=BB22_9 Depth=1
	s_or_b64 exec, exec, s[2:3]
	v_cmp_gt_u32_e64 s[2:3], s6, v23
	s_and_saveexec_b64 s[4:5], s[2:3]
	s_cbranch_execnz .LBB22_26
.LBB22_18:                              ;   in Loop: Header=BB22_9 Depth=1
	s_or_b64 exec, exec, s[4:5]
	v_cmp_gt_u32_e64 s[4:5], s6, v24
	s_and_saveexec_b64 s[6:7], s[4:5]
	s_cbranch_execz .LBB22_20
.LBB22_19:                              ;   in Loop: Header=BB22_9 Depth=1
	s_waitcnt lgkmcnt(0)
	global_store_dwordx2 v[0:1], v[20:21], off offset:8
.LBB22_20:                              ;   in Loop: Header=BB22_9 Depth=1
	s_or_b64 exec, exec, s[6:7]
	v_mov_b32_e32 v3, s9
	v_add_co_u32_e64 v14, s[6:7], s8, v5
	v_addc_co_u32_e64 v15, s[6:7], v11, v3, s[6:7]
	s_and_saveexec_b64 s[6:7], vcc
	s_cbranch_execnz .LBB22_27
; %bb.21:                               ;   in Loop: Header=BB22_9 Depth=1
	s_or_b64 exec, exec, s[6:7]
	s_and_saveexec_b64 s[6:7], s[0:1]
	s_cbranch_execnz .LBB22_28
.LBB22_22:                              ;   in Loop: Header=BB22_9 Depth=1
	s_or_b64 exec, exec, s[6:7]
	s_and_saveexec_b64 s[0:1], s[2:3]
	s_cbranch_execnz .LBB22_29
.LBB22_23:                              ;   in Loop: Header=BB22_9 Depth=1
	s_or_b64 exec, exec, s[0:1]
	s_and_saveexec_b64 s[0:1], s[4:5]
	s_cbranch_execz .LBB22_8
	s_branch .LBB22_30
.LBB22_24:                              ;   in Loop: Header=BB22_9 Depth=1
	global_store_dwordx2 v[0:1], v[14:15], off offset:-16
	s_or_b64 exec, exec, s[0:1]
	v_cmp_gt_u32_e64 s[0:1], s6, v22
	s_and_saveexec_b64 s[2:3], s[0:1]
	s_cbranch_execz .LBB22_17
.LBB22_25:                              ;   in Loop: Header=BB22_9 Depth=1
	global_store_dwordx2 v[0:1], v[16:17], off offset:-8
	s_or_b64 exec, exec, s[2:3]
	v_cmp_gt_u32_e64 s[2:3], s6, v23
	s_and_saveexec_b64 s[4:5], s[2:3]
	s_cbranch_execz .LBB22_18
.LBB22_26:                              ;   in Loop: Header=BB22_9 Depth=1
	global_store_dwordx2 v[0:1], v[18:19], off
	s_or_b64 exec, exec, s[4:5]
	v_cmp_gt_u32_e64 s[4:5], s6, v24
	s_and_saveexec_b64 s[6:7], s[4:5]
	s_cbranch_execnz .LBB22_19
	s_branch .LBB22_20
.LBB22_27:                              ;   in Loop: Header=BB22_9 Depth=1
	v_sub_u32_e32 v2, v10, v2
	global_store_byte v[14:15], v2, off
	s_or_b64 exec, exec, s[6:7]
	s_and_saveexec_b64 s[6:7], s[0:1]
	s_cbranch_execz .LBB22_22
.LBB22_28:                              ;   in Loop: Header=BB22_9 Depth=1
	v_add_u16_e32 v2, 1, v4
	global_store_byte v[14:15], v2, off offset:1
	s_or_b64 exec, exec, s[6:7]
	s_and_saveexec_b64 s[0:1], s[2:3]
	s_cbranch_execz .LBB22_23
.LBB22_29:                              ;   in Loop: Header=BB22_9 Depth=1
	v_add_u16_e32 v2, 2, v6
	global_store_byte v[14:15], v2, off offset:2
	s_or_b64 exec, exec, s[0:1]
	s_and_saveexec_b64 s[0:1], s[4:5]
	s_cbranch_execz .LBB22_8
.LBB22_30:                              ;   in Loop: Header=BB22_9 Depth=1
	v_add_u16_e32 v2, 3, v8
	global_store_byte v[14:15], v2, off offset:3
	s_branch .LBB22_8
.LBB22_31:
	s_endpgm
	.section	.rodata,"a",@progbits
	.p2align	6, 0x0
	.amdhsa_kernel _Z30block_run_length_decode_kernelIdcLj256ELj4ELj4EEvPKT_PKT0_PS0_PS3_
		.amdhsa_group_segment_fixed_size 12288
		.amdhsa_private_segment_fixed_size 0
		.amdhsa_kernarg_size 32
		.amdhsa_user_sgpr_count 6
		.amdhsa_user_sgpr_private_segment_buffer 1
		.amdhsa_user_sgpr_dispatch_ptr 0
		.amdhsa_user_sgpr_queue_ptr 0
		.amdhsa_user_sgpr_kernarg_segment_ptr 1
		.amdhsa_user_sgpr_dispatch_id 0
		.amdhsa_user_sgpr_flat_scratch_init 0
		.amdhsa_user_sgpr_kernarg_preload_length 0
		.amdhsa_user_sgpr_kernarg_preload_offset 0
		.amdhsa_user_sgpr_private_segment_size 0
		.amdhsa_uses_dynamic_stack 0
		.amdhsa_system_sgpr_private_segment_wavefront_offset 0
		.amdhsa_system_sgpr_workgroup_id_x 1
		.amdhsa_system_sgpr_workgroup_id_y 0
		.amdhsa_system_sgpr_workgroup_id_z 0
		.amdhsa_system_sgpr_workgroup_info 0
		.amdhsa_system_vgpr_workitem_id 0
		.amdhsa_next_free_vgpr 32
		.amdhsa_next_free_sgpr 16
		.amdhsa_accum_offset 32
		.amdhsa_reserve_vcc 1
		.amdhsa_reserve_flat_scratch 0
		.amdhsa_float_round_mode_32 0
		.amdhsa_float_round_mode_16_64 0
		.amdhsa_float_denorm_mode_32 3
		.amdhsa_float_denorm_mode_16_64 3
		.amdhsa_dx10_clamp 1
		.amdhsa_ieee_mode 1
		.amdhsa_fp16_overflow 0
		.amdhsa_tg_split 0
		.amdhsa_exception_fp_ieee_invalid_op 0
		.amdhsa_exception_fp_denorm_src 0
		.amdhsa_exception_fp_ieee_div_zero 0
		.amdhsa_exception_fp_ieee_overflow 0
		.amdhsa_exception_fp_ieee_underflow 0
		.amdhsa_exception_fp_ieee_inexact 0
		.amdhsa_exception_int_div_zero 0
	.end_amdhsa_kernel
	.section	.text._Z30block_run_length_decode_kernelIdcLj256ELj4ELj4EEvPKT_PKT0_PS0_PS3_,"axG",@progbits,_Z30block_run_length_decode_kernelIdcLj256ELj4ELj4EEvPKT_PKT0_PS0_PS3_,comdat
.Lfunc_end22:
	.size	_Z30block_run_length_decode_kernelIdcLj256ELj4ELj4EEvPKT_PKT0_PS0_PS3_, .Lfunc_end22-_Z30block_run_length_decode_kernelIdcLj256ELj4ELj4EEvPKT_PKT0_PS0_PS3_
                                        ; -- End function
	.section	.AMDGPU.csdata,"",@progbits
; Kernel info:
; codeLenInByte = 2028
; NumSgprs: 20
; NumVgprs: 32
; NumAgprs: 0
; TotalNumVgprs: 32
; ScratchSize: 0
; MemoryBound: 0
; FloatMode: 240
; IeeeMode: 1
; LDSByteSize: 12288 bytes/workgroup (compile time only)
; SGPRBlocks: 2
; VGPRBlocks: 3
; NumSGPRsForWavesPerEU: 20
; NumVGPRsForWavesPerEU: 32
; AccumOffset: 32
; Occupancy: 5
; WaveLimiterHint : 0
; COMPUTE_PGM_RSRC2:SCRATCH_EN: 0
; COMPUTE_PGM_RSRC2:USER_SGPR: 6
; COMPUTE_PGM_RSRC2:TRAP_HANDLER: 0
; COMPUTE_PGM_RSRC2:TGID_X_EN: 1
; COMPUTE_PGM_RSRC2:TGID_Y_EN: 0
; COMPUTE_PGM_RSRC2:TGID_Z_EN: 0
; COMPUTE_PGM_RSRC2:TIDIG_COMP_CNT: 0
; COMPUTE_PGM_RSRC3_GFX90A:ACCUM_OFFSET: 7
; COMPUTE_PGM_RSRC3_GFX90A:TG_SPLIT: 0
	.section	.text._Z30block_run_length_decode_kernelIhiLj256ELj4ELj4EEvPKT_PKT0_PS0_PS3_,"axG",@progbits,_Z30block_run_length_decode_kernelIhiLj256ELj4ELj4EEvPKT_PKT0_PS0_PS3_,comdat
	.protected	_Z30block_run_length_decode_kernelIhiLj256ELj4ELj4EEvPKT_PKT0_PS0_PS3_ ; -- Begin function _Z30block_run_length_decode_kernelIhiLj256ELj4ELj4EEvPKT_PKT0_PS0_PS3_
	.globl	_Z30block_run_length_decode_kernelIhiLj256ELj4ELj4EEvPKT_PKT0_PS0_PS3_
	.p2align	8
	.type	_Z30block_run_length_decode_kernelIhiLj256ELj4ELj4EEvPKT_PKT0_PS0_PS3_,@function
_Z30block_run_length_decode_kernelIhiLj256ELj4ELj4EEvPKT_PKT0_PS0_PS3_: ; @_Z30block_run_length_decode_kernelIhiLj256ELj4ELj4EEvPKT_PKT0_PS0_PS3_
; %bb.0:
	s_load_dwordx8 s[8:15], s[4:5], 0x0
	v_lshlrev_b32_e32 v6, 2, v0
	v_lshl_or_b32 v8, s6, 10, v6
	v_mov_b32_e32 v9, 0
	v_lshlrev_b64 v[10:11], 2, v[8:9]
	s_waitcnt lgkmcnt(0)
	v_mov_b32_e32 v1, s11
	v_add_co_u32_e32 v12, vcc, s10, v10
	v_addc_co_u32_e32 v13, vcc, v1, v11, vcc
	global_load_dwordx4 v[2:5], v[12:13], off
	global_load_dword v1, v8, s[8:9]
	v_mbcnt_lo_u32_b32 v7, -1, 0
	v_mbcnt_hi_u32_b32 v7, -1, v7
	v_and_b32_e32 v13, 15, v7
	v_cmp_ne_u32_e32 vcc, 0, v13
	v_bfe_i32 v14, v7, 4, 1
	v_or_b32_e32 v12, 63, v0
	v_lshrrev_b32_e32 v9, 6, v0
	s_waitcnt vmcnt(1)
	v_add_u32_e32 v15, v3, v2
	v_add3_u32 v5, v15, v4, v5
	s_nop 1
	v_mov_b32_dpp v15, v5 row_shr:1 row_mask:0xf bank_mask:0xf
	v_cndmask_b32_e32 v15, 0, v15, vcc
	v_add_u32_e32 v5, v15, v5
	v_cmp_lt_u32_e32 vcc, 1, v13
	s_nop 0
	v_mov_b32_dpp v15, v5 row_shr:2 row_mask:0xf bank_mask:0xf
	v_cndmask_b32_e32 v15, 0, v15, vcc
	v_add_u32_e32 v5, v5, v15
	v_cmp_lt_u32_e32 vcc, 3, v13
	;; [unrolled: 5-line block ×4, first 2 shown]
	s_nop 0
	v_mov_b32_dpp v13, v5 row_bcast:15 row_mask:0xf bank_mask:0xf
	v_and_b32_e32 v13, v14, v13
	v_add_u32_e32 v5, v5, v13
	s_nop 1
	v_mov_b32_dpp v13, v5 row_bcast:31 row_mask:0xf bank_mask:0xf
	v_cndmask_b32_e32 v13, 0, v13, vcc
	v_add_u32_e32 v5, v5, v13
	v_cmp_eq_u32_e32 vcc, v12, v0
	s_and_saveexec_b64 s[0:1], vcc
	s_cbranch_execz .LBB23_2
; %bb.1:
	v_lshlrev_b32_e32 v12, 2, v9
	ds_write_b32 v12, v5
.LBB23_2:
	s_or_b64 exec, exec, s[0:1]
	v_cmp_gt_u32_e32 vcc, 4, v0
	s_waitcnt lgkmcnt(0)
	s_barrier
	s_and_saveexec_b64 s[0:1], vcc
	s_cbranch_execz .LBB23_4
; %bb.3:
	ds_read_b32 v12, v6
	v_and_b32_e32 v13, 3, v7
	v_cmp_ne_u32_e32 vcc, 0, v13
	s_waitcnt lgkmcnt(0)
	v_mov_b32_dpp v14, v12 row_shr:1 row_mask:0xf bank_mask:0xf
	v_cndmask_b32_e32 v14, 0, v14, vcc
	v_add_u32_e32 v12, v14, v12
	v_cmp_lt_u32_e32 vcc, 1, v13
	s_nop 0
	v_mov_b32_dpp v14, v12 row_shr:2 row_mask:0xf bank_mask:0xf
	v_cndmask_b32_e32 v13, 0, v14, vcc
	v_add_u32_e32 v12, v12, v13
	ds_write_b32 v6, v12
.LBB23_4:
	s_or_b64 exec, exec, s[0:1]
	v_cmp_lt_u32_e32 vcc, 63, v0
	v_mov_b32_e32 v12, 0
	v_mov_b32_e32 v13, 0
	s_waitcnt lgkmcnt(0)
	s_barrier
	s_and_saveexec_b64 s[0:1], vcc
	s_cbranch_execz .LBB23_6
; %bb.5:
	v_lshl_add_u32 v9, v9, 2, -4
	ds_read_b32 v13, v9
.LBB23_6:
	s_or_b64 exec, exec, s[0:1]
	v_add_u32_e32 v9, -1, v7
	v_and_b32_e32 v14, 64, v7
	v_cmp_lt_i32_e32 vcc, v9, v14
	v_cndmask_b32_e32 v9, v9, v7, vcc
	s_waitcnt lgkmcnt(0)
	v_add_u32_e32 v5, v13, v5
	v_lshlrev_b32_e32 v9, 2, v9
	ds_bpermute_b32 v5, v9, v5
	v_cmp_eq_u32_e32 vcc, 0, v7
	ds_read_b32 v7, v12 offset:12
	s_waitcnt lgkmcnt(0)
	s_barrier
	v_cndmask_b32_e32 v5, v5, v13, vcc
	v_cmp_ne_u32_e32 vcc, 0, v0
	v_cndmask_b32_e32 v0, 0, v5, vcc
	v_add_u32_e32 v2, v0, v2
	v_lshlrev_b32_e32 v5, 2, v6
	v_cmp_eq_u32_e32 vcc, 0, v7
	v_add_u32_e32 v3, v2, v3
	v_readfirstlane_b32 s10, v7
	v_add_u32_e32 v9, 0x400, v5
	s_and_b64 vcc, exec, vcc
	v_add_u32_e32 v4, v3, v4
	ds_write2_b32 v9, v0, v2 offset1:1
	v_add_u32_e32 v0, 0x408, v5
	s_waitcnt vmcnt(0)
	ds_write_b32 v6, v1
	ds_write2_b32 v0, v3, v4 offset1:1
	s_waitcnt lgkmcnt(0)
	s_barrier
	s_cbranch_vccnz .LBB23_31
; %bb.7:
	v_mov_b32_e32 v0, s13
	v_add_co_u32_e32 v7, vcc, s12, v8
	v_addc_co_u32_e32 v9, vcc, 0, v0, vcc
	v_mov_b32_e32 v0, 0
	ds_read_b32 v16, v0 offset:3072
	v_mov_b32_e32 v0, s15
	v_add_co_u32_e32 v1, vcc, s14, v10
	v_addc_co_u32_e32 v2, vcc, v11, v0, vcc
	v_add_co_u32_e32 v0, vcc, 8, v1
	v_or_b32_e32 v17, 1, v8
	v_or_b32_e32 v18, 2, v8
	;; [unrolled: 1-line block ×3, first 2 shown]
	v_addc_co_u32_e32 v1, vcc, 0, v2, vcc
	s_mov_b64 s[6:7], 0
	v_mov_b32_e32 v20, 0x201
	v_mov_b32_e32 v21, 0x400
	;; [unrolled: 1-line block ×5, first 2 shown]
	s_mov_b32 s11, s10
	s_branch .LBB23_9
.LBB23_8:                               ;   in Loop: Header=BB23_9 Depth=1
	s_or_b64 exec, exec, s[0:1]
	s_add_u32 s6, s6, 0x400
	s_addc_u32 s7, s7, 0
	s_addk_i32 s11, 0xfc00
	v_add_co_u32_e32 v0, vcc, 0x1000, v0
	s_cmp_lt_u32 s6, s10
	v_addc_co_u32_e32 v1, vcc, 0, v1, vcc
	s_cbranch_scc0 .LBB23_31
.LBB23_9:                               ; =>This Inner Loop Header: Depth=1
	v_add_co_u32_e32 v14, vcc, s6, v6
	s_waitcnt lgkmcnt(0)
	v_cmp_gt_u32_e32 vcc, v16, v14
	v_cndmask_b32_e32 v3, v23, v24, vcc
	v_lshlrev_b32_e32 v4, 2, v3
	ds_read_b32 v4, v4 offset:1024
	v_cndmask_b32_e64 v2, v20, 0, vcc
	v_cndmask_b32_e32 v5, v21, v22, vcc
	v_or_b32_e32 v10, 1, v3
	s_waitcnt lgkmcnt(0)
	v_cmp_gt_u32_e32 vcc, v4, v14
	v_cndmask_b32_e32 v2, v10, v2, vcc
	v_cndmask_b32_e32 v3, v5, v3, vcc
	v_sub_u32_e32 v4, v3, v2
	v_lshrrev_b16_e32 v5, 15, v4
	v_add_u16_e32 v4, v4, v5
	v_ashrrev_i16_e32 v4, 1, v4
	v_add_u32_sdwa v4, v2, sext(v4) dst_sel:DWORD dst_unused:UNUSED_PAD src0_sel:DWORD src1_sel:WORD_0
	v_min_i32_e32 v4, 0x3ff, v4
	v_lshlrev_b32_e32 v5, 2, v4
	ds_read_b32 v5, v5 offset:1024
	v_add_u32_e32 v10, 1, v4
	s_waitcnt lgkmcnt(0)
	v_cmp_gt_u32_e32 vcc, v5, v14
	v_cndmask_b32_e32 v2, v10, v2, vcc
	v_cndmask_b32_e32 v3, v3, v4, vcc
	v_sub_u32_e32 v4, v3, v2
	v_lshrrev_b16_e32 v5, 15, v4
	v_add_u16_e32 v4, v4, v5
	v_ashrrev_i16_e32 v4, 1, v4
	v_add_u32_sdwa v4, v2, sext(v4) dst_sel:DWORD dst_unused:UNUSED_PAD src0_sel:DWORD src1_sel:WORD_0
	v_min_i32_e32 v4, 0x3ff, v4
	v_lshlrev_b32_e32 v5, 2, v4
	ds_read_b32 v5, v5 offset:1024
	v_add_u32_e32 v10, 1, v4
	;; [unrolled: 13-line block ×9, first 2 shown]
	s_waitcnt lgkmcnt(0)
	v_cmp_gt_u32_e32 vcc, v4, v14
	v_cndmask_b32_e32 v15, v3, v2, vcc
	v_lshlrev_b32_e32 v10, 2, v15
	v_add_u32_e32 v2, 0x3fc, v10
	ds_read2_b32 v[4:5], v2 offset1:1
	v_add_u32_e32 v3, -1, v15
	ds_read_u8 v26, v3
	v_add_u32_e32 v2, 1, v14
	s_waitcnt lgkmcnt(1)
	v_sub_u32_e32 v3, 0, v4
	v_add_co_u32_e64 v4, s[0:1], v14, v3
	v_cmp_eq_u32_e32 vcc, v2, v5
	v_pk_mov_b32 v[2:3], v[4:5], v[4:5] op_sel:[0,1]
	s_waitcnt lgkmcnt(0)
	v_mov_b32_e32 v25, v26
	s_and_saveexec_b64 s[0:1], vcc
	s_cbranch_execz .LBB23_11
; %bb.10:                               ;   in Loop: Header=BB23_9 Depth=1
	ds_read_u8 v25, v15
	ds_read_b32 v10, v10 offset:1028
	v_add_u32_e32 v3, 1, v15
	v_sub_u32_e32 v2, 0, v5
	v_add_co_u32_e32 v2, vcc, v14, v2
	v_mov_b32_e32 v15, v3
	s_waitcnt lgkmcnt(0)
	v_mov_b32_e32 v5, v10
.LBB23_11:                              ;   in Loop: Header=BB23_9 Depth=1
	s_or_b64 exec, exec, s[0:1]
	v_add_u32_e32 v10, 2, v14
	v_cmp_eq_u32_e32 vcc, v10, v5
	v_pk_mov_b32 v[10:11], v[2:3], v[2:3] op_sel:[0,1]
	v_mov_b32_e32 v3, v25
	s_and_saveexec_b64 s[0:1], vcc
	s_cbranch_execz .LBB23_13
; %bb.12:                               ;   in Loop: Header=BB23_9 Depth=1
	v_add_u32_e32 v11, 1, v15
	v_lshlrev_b32_e32 v10, 2, v11
	ds_read_u8 v3, v15
	ds_read_b32 v12, v10 offset:1024
	v_sub_u32_e32 v5, 0, v5
	v_add_co_u32_e32 v10, vcc, v14, v5
	v_mov_b32_e32 v15, v11
	s_waitcnt lgkmcnt(0)
	v_mov_b32_e32 v5, v12
.LBB23_13:                              ;   in Loop: Header=BB23_9 Depth=1
	s_or_b64 exec, exec, s[0:1]
	v_add_u32_e32 v12, 3, v14
	v_cmp_eq_u32_e32 vcc, v12, v5
	v_pk_mov_b32 v[12:13], v[10:11], v[10:11] op_sel:[0,1]
	v_mov_b32_e32 v5, v3
	s_and_saveexec_b64 s[0:1], vcc
	s_cbranch_execz .LBB23_15
; %bb.14:                               ;   in Loop: Header=BB23_9 Depth=1
	v_lshlrev_b32_e32 v5, 2, v15
	ds_read_b32 v11, v5 offset:1024
	ds_read_u8 v5, v15
	s_waitcnt lgkmcnt(1)
	v_sub_u32_e32 v11, 0, v11
	v_add_co_u32_e32 v12, vcc, v14, v11
.LBB23_15:                              ;   in Loop: Header=BB23_9 Depth=1
	s_or_b64 exec, exec, s[0:1]
	v_mov_b32_e32 v11, s7
	v_add_co_u32_e32 v14, vcc, s6, v7
	s_min_u32 s8, s11, 0x400
	v_addc_co_u32_e32 v15, vcc, v9, v11, vcc
	v_cmp_gt_u32_e32 vcc, s8, v8
	s_and_saveexec_b64 s[0:1], vcc
	s_cbranch_execnz .LBB23_23
; %bb.16:                               ;   in Loop: Header=BB23_9 Depth=1
	s_or_b64 exec, exec, s[0:1]
	v_cmp_gt_u32_e64 s[0:1], s8, v17
	s_and_saveexec_b64 s[2:3], s[0:1]
	s_cbranch_execnz .LBB23_24
.LBB23_17:                              ;   in Loop: Header=BB23_9 Depth=1
	s_or_b64 exec, exec, s[2:3]
	v_cmp_gt_u32_e64 s[2:3], s8, v18
	s_and_saveexec_b64 s[4:5], s[2:3]
	s_cbranch_execnz .LBB23_25
.LBB23_18:                              ;   in Loop: Header=BB23_9 Depth=1
	s_or_b64 exec, exec, s[4:5]
	v_cmp_gt_u32_e64 s[4:5], s8, v19
	s_and_saveexec_b64 s[8:9], s[4:5]
	s_cbranch_execnz .LBB23_26
.LBB23_19:                              ;   in Loop: Header=BB23_9 Depth=1
	s_or_b64 exec, exec, s[8:9]
	s_and_saveexec_b64 s[8:9], vcc
	s_cbranch_execnz .LBB23_27
.LBB23_20:                              ;   in Loop: Header=BB23_9 Depth=1
	s_or_b64 exec, exec, s[8:9]
	s_and_saveexec_b64 s[8:9], s[0:1]
	s_cbranch_execnz .LBB23_28
.LBB23_21:                              ;   in Loop: Header=BB23_9 Depth=1
	s_or_b64 exec, exec, s[8:9]
	s_and_saveexec_b64 s[0:1], s[2:3]
	s_cbranch_execnz .LBB23_29
.LBB23_22:                              ;   in Loop: Header=BB23_9 Depth=1
	s_or_b64 exec, exec, s[0:1]
	s_and_saveexec_b64 s[0:1], s[4:5]
	s_cbranch_execz .LBB23_8
	s_branch .LBB23_30
.LBB23_23:                              ;   in Loop: Header=BB23_9 Depth=1
	global_store_byte v[14:15], v26, off
	s_or_b64 exec, exec, s[0:1]
	v_cmp_gt_u32_e64 s[0:1], s8, v17
	s_and_saveexec_b64 s[2:3], s[0:1]
	s_cbranch_execz .LBB23_17
.LBB23_24:                              ;   in Loop: Header=BB23_9 Depth=1
	global_store_byte v[14:15], v25, off offset:1
	s_or_b64 exec, exec, s[2:3]
	v_cmp_gt_u32_e64 s[2:3], s8, v18
	s_and_saveexec_b64 s[4:5], s[2:3]
	s_cbranch_execz .LBB23_18
.LBB23_25:                              ;   in Loop: Header=BB23_9 Depth=1
	global_store_byte v[14:15], v3, off offset:2
	s_or_b64 exec, exec, s[4:5]
	v_cmp_gt_u32_e64 s[4:5], s8, v19
	s_and_saveexec_b64 s[8:9], s[4:5]
	s_cbranch_execz .LBB23_19
.LBB23_26:                              ;   in Loop: Header=BB23_9 Depth=1
	s_waitcnt lgkmcnt(0)
	global_store_byte v[14:15], v5, off offset:3
	s_or_b64 exec, exec, s[8:9]
	s_and_saveexec_b64 s[8:9], vcc
	s_cbranch_execz .LBB23_20
.LBB23_27:                              ;   in Loop: Header=BB23_9 Depth=1
	global_store_dword v[0:1], v4, off offset:-8
	s_or_b64 exec, exec, s[8:9]
	s_and_saveexec_b64 s[8:9], s[0:1]
	s_cbranch_execz .LBB23_21
.LBB23_28:                              ;   in Loop: Header=BB23_9 Depth=1
	v_add_u32_e32 v2, 1, v2
	global_store_dword v[0:1], v2, off offset:-4
	s_or_b64 exec, exec, s[8:9]
	s_and_saveexec_b64 s[0:1], s[2:3]
	s_cbranch_execz .LBB23_22
.LBB23_29:                              ;   in Loop: Header=BB23_9 Depth=1
	v_add_u32_e32 v2, 2, v10
	global_store_dword v[0:1], v2, off
	s_or_b64 exec, exec, s[0:1]
	s_and_saveexec_b64 s[0:1], s[4:5]
	s_cbranch_execz .LBB23_8
.LBB23_30:                              ;   in Loop: Header=BB23_9 Depth=1
	v_add_u32_e32 v2, 3, v12
	global_store_dword v[0:1], v2, off offset:4
	s_branch .LBB23_8
.LBB23_31:
	s_endpgm
	.section	.rodata,"a",@progbits
	.p2align	6, 0x0
	.amdhsa_kernel _Z30block_run_length_decode_kernelIhiLj256ELj4ELj4EEvPKT_PKT0_PS0_PS3_
		.amdhsa_group_segment_fixed_size 5120
		.amdhsa_private_segment_fixed_size 0
		.amdhsa_kernarg_size 32
		.amdhsa_user_sgpr_count 6
		.amdhsa_user_sgpr_private_segment_buffer 1
		.amdhsa_user_sgpr_dispatch_ptr 0
		.amdhsa_user_sgpr_queue_ptr 0
		.amdhsa_user_sgpr_kernarg_segment_ptr 1
		.amdhsa_user_sgpr_dispatch_id 0
		.amdhsa_user_sgpr_flat_scratch_init 0
		.amdhsa_user_sgpr_kernarg_preload_length 0
		.amdhsa_user_sgpr_kernarg_preload_offset 0
		.amdhsa_user_sgpr_private_segment_size 0
		.amdhsa_uses_dynamic_stack 0
		.amdhsa_system_sgpr_private_segment_wavefront_offset 0
		.amdhsa_system_sgpr_workgroup_id_x 1
		.amdhsa_system_sgpr_workgroup_id_y 0
		.amdhsa_system_sgpr_workgroup_id_z 0
		.amdhsa_system_sgpr_workgroup_info 0
		.amdhsa_system_vgpr_workitem_id 0
		.amdhsa_next_free_vgpr 27
		.amdhsa_next_free_sgpr 16
		.amdhsa_accum_offset 28
		.amdhsa_reserve_vcc 1
		.amdhsa_reserve_flat_scratch 0
		.amdhsa_float_round_mode_32 0
		.amdhsa_float_round_mode_16_64 0
		.amdhsa_float_denorm_mode_32 3
		.amdhsa_float_denorm_mode_16_64 3
		.amdhsa_dx10_clamp 1
		.amdhsa_ieee_mode 1
		.amdhsa_fp16_overflow 0
		.amdhsa_tg_split 0
		.amdhsa_exception_fp_ieee_invalid_op 0
		.amdhsa_exception_fp_denorm_src 0
		.amdhsa_exception_fp_ieee_div_zero 0
		.amdhsa_exception_fp_ieee_overflow 0
		.amdhsa_exception_fp_ieee_underflow 0
		.amdhsa_exception_fp_ieee_inexact 0
		.amdhsa_exception_int_div_zero 0
	.end_amdhsa_kernel
	.section	.text._Z30block_run_length_decode_kernelIhiLj256ELj4ELj4EEvPKT_PKT0_PS0_PS3_,"axG",@progbits,_Z30block_run_length_decode_kernelIhiLj256ELj4ELj4EEvPKT_PKT0_PS0_PS3_,comdat
.Lfunc_end23:
	.size	_Z30block_run_length_decode_kernelIhiLj256ELj4ELj4EEvPKT_PKT0_PS0_PS3_, .Lfunc_end23-_Z30block_run_length_decode_kernelIhiLj256ELj4ELj4EEvPKT_PKT0_PS0_PS3_
                                        ; -- End function
	.section	.AMDGPU.csdata,"",@progbits
; Kernel info:
; codeLenInByte = 1960
; NumSgprs: 20
; NumVgprs: 27
; NumAgprs: 0
; TotalNumVgprs: 27
; ScratchSize: 0
; MemoryBound: 0
; FloatMode: 240
; IeeeMode: 1
; LDSByteSize: 5120 bytes/workgroup (compile time only)
; SGPRBlocks: 2
; VGPRBlocks: 3
; NumSGPRsForWavesPerEU: 20
; NumVGPRsForWavesPerEU: 27
; AccumOffset: 28
; Occupancy: 8
; WaveLimiterHint : 0
; COMPUTE_PGM_RSRC2:SCRATCH_EN: 0
; COMPUTE_PGM_RSRC2:USER_SGPR: 6
; COMPUTE_PGM_RSRC2:TRAP_HANDLER: 0
; COMPUTE_PGM_RSRC2:TGID_X_EN: 1
; COMPUTE_PGM_RSRC2:TGID_Y_EN: 0
; COMPUTE_PGM_RSRC2:TGID_Z_EN: 0
; COMPUTE_PGM_RSRC2:TIDIG_COMP_CNT: 0
; COMPUTE_PGM_RSRC3_GFX90A:ACCUM_OFFSET: 6
; COMPUTE_PGM_RSRC3_GFX90A:TG_SPLIT: 0
	.section	.text._Z30block_run_length_decode_kernelIaiLj256ELj4ELj4EEvPKT_PKT0_PS0_PS3_,"axG",@progbits,_Z30block_run_length_decode_kernelIaiLj256ELj4ELj4EEvPKT_PKT0_PS0_PS3_,comdat
	.protected	_Z30block_run_length_decode_kernelIaiLj256ELj4ELj4EEvPKT_PKT0_PS0_PS3_ ; -- Begin function _Z30block_run_length_decode_kernelIaiLj256ELj4ELj4EEvPKT_PKT0_PS0_PS3_
	.globl	_Z30block_run_length_decode_kernelIaiLj256ELj4ELj4EEvPKT_PKT0_PS0_PS3_
	.p2align	8
	.type	_Z30block_run_length_decode_kernelIaiLj256ELj4ELj4EEvPKT_PKT0_PS0_PS3_,@function
_Z30block_run_length_decode_kernelIaiLj256ELj4ELj4EEvPKT_PKT0_PS0_PS3_: ; @_Z30block_run_length_decode_kernelIaiLj256ELj4ELj4EEvPKT_PKT0_PS0_PS3_
; %bb.0:
	s_load_dwordx8 s[8:15], s[4:5], 0x0
	v_lshlrev_b32_e32 v6, 2, v0
	v_lshl_or_b32 v8, s6, 10, v6
	v_mov_b32_e32 v9, 0
	v_lshlrev_b64 v[10:11], 2, v[8:9]
	s_waitcnt lgkmcnt(0)
	v_mov_b32_e32 v1, s11
	v_add_co_u32_e32 v12, vcc, s10, v10
	v_addc_co_u32_e32 v13, vcc, v1, v11, vcc
	global_load_dwordx4 v[2:5], v[12:13], off
	global_load_dword v1, v8, s[8:9]
	v_mbcnt_lo_u32_b32 v7, -1, 0
	v_mbcnt_hi_u32_b32 v7, -1, v7
	v_and_b32_e32 v13, 15, v7
	v_cmp_ne_u32_e32 vcc, 0, v13
	v_bfe_i32 v14, v7, 4, 1
	v_or_b32_e32 v12, 63, v0
	v_lshrrev_b32_e32 v9, 6, v0
	s_waitcnt vmcnt(1)
	v_add_u32_e32 v15, v3, v2
	v_add3_u32 v5, v15, v4, v5
	s_nop 1
	v_mov_b32_dpp v15, v5 row_shr:1 row_mask:0xf bank_mask:0xf
	v_cndmask_b32_e32 v15, 0, v15, vcc
	v_add_u32_e32 v5, v15, v5
	v_cmp_lt_u32_e32 vcc, 1, v13
	s_nop 0
	v_mov_b32_dpp v15, v5 row_shr:2 row_mask:0xf bank_mask:0xf
	v_cndmask_b32_e32 v15, 0, v15, vcc
	v_add_u32_e32 v5, v5, v15
	v_cmp_lt_u32_e32 vcc, 3, v13
	;; [unrolled: 5-line block ×4, first 2 shown]
	s_nop 0
	v_mov_b32_dpp v13, v5 row_bcast:15 row_mask:0xf bank_mask:0xf
	v_and_b32_e32 v13, v14, v13
	v_add_u32_e32 v5, v5, v13
	s_nop 1
	v_mov_b32_dpp v13, v5 row_bcast:31 row_mask:0xf bank_mask:0xf
	v_cndmask_b32_e32 v13, 0, v13, vcc
	v_add_u32_e32 v5, v5, v13
	v_cmp_eq_u32_e32 vcc, v12, v0
	s_and_saveexec_b64 s[0:1], vcc
	s_cbranch_execz .LBB24_2
; %bb.1:
	v_lshlrev_b32_e32 v12, 2, v9
	ds_write_b32 v12, v5
.LBB24_2:
	s_or_b64 exec, exec, s[0:1]
	v_cmp_gt_u32_e32 vcc, 4, v0
	s_waitcnt lgkmcnt(0)
	s_barrier
	s_and_saveexec_b64 s[0:1], vcc
	s_cbranch_execz .LBB24_4
; %bb.3:
	ds_read_b32 v12, v6
	v_and_b32_e32 v13, 3, v7
	v_cmp_ne_u32_e32 vcc, 0, v13
	s_waitcnt lgkmcnt(0)
	v_mov_b32_dpp v14, v12 row_shr:1 row_mask:0xf bank_mask:0xf
	v_cndmask_b32_e32 v14, 0, v14, vcc
	v_add_u32_e32 v12, v14, v12
	v_cmp_lt_u32_e32 vcc, 1, v13
	s_nop 0
	v_mov_b32_dpp v14, v12 row_shr:2 row_mask:0xf bank_mask:0xf
	v_cndmask_b32_e32 v13, 0, v14, vcc
	v_add_u32_e32 v12, v12, v13
	ds_write_b32 v6, v12
.LBB24_4:
	s_or_b64 exec, exec, s[0:1]
	v_cmp_lt_u32_e32 vcc, 63, v0
	v_mov_b32_e32 v12, 0
	v_mov_b32_e32 v13, 0
	s_waitcnt lgkmcnt(0)
	s_barrier
	s_and_saveexec_b64 s[0:1], vcc
	s_cbranch_execz .LBB24_6
; %bb.5:
	v_lshl_add_u32 v9, v9, 2, -4
	ds_read_b32 v13, v9
.LBB24_6:
	s_or_b64 exec, exec, s[0:1]
	v_add_u32_e32 v9, -1, v7
	v_and_b32_e32 v14, 64, v7
	v_cmp_lt_i32_e32 vcc, v9, v14
	v_cndmask_b32_e32 v9, v9, v7, vcc
	s_waitcnt lgkmcnt(0)
	v_add_u32_e32 v5, v13, v5
	v_lshlrev_b32_e32 v9, 2, v9
	ds_bpermute_b32 v5, v9, v5
	v_cmp_eq_u32_e32 vcc, 0, v7
	ds_read_b32 v7, v12 offset:12
	s_waitcnt lgkmcnt(0)
	s_barrier
	v_cndmask_b32_e32 v5, v5, v13, vcc
	v_cmp_ne_u32_e32 vcc, 0, v0
	v_cndmask_b32_e32 v0, 0, v5, vcc
	v_add_u32_e32 v2, v0, v2
	v_lshlrev_b32_e32 v5, 2, v6
	v_cmp_eq_u32_e32 vcc, 0, v7
	v_add_u32_e32 v3, v2, v3
	v_readfirstlane_b32 s10, v7
	v_add_u32_e32 v9, 0x400, v5
	s_and_b64 vcc, exec, vcc
	v_add_u32_e32 v4, v3, v4
	ds_write2_b32 v9, v0, v2 offset1:1
	v_add_u32_e32 v0, 0x408, v5
	s_waitcnt vmcnt(0)
	ds_write_b32 v6, v1
	ds_write2_b32 v0, v3, v4 offset1:1
	s_waitcnt lgkmcnt(0)
	s_barrier
	s_cbranch_vccnz .LBB24_31
; %bb.7:
	v_mov_b32_e32 v0, s13
	v_add_co_u32_e32 v7, vcc, s12, v8
	v_addc_co_u32_e32 v9, vcc, 0, v0, vcc
	v_mov_b32_e32 v0, 0
	ds_read_b32 v16, v0 offset:3072
	v_mov_b32_e32 v0, s15
	v_add_co_u32_e32 v1, vcc, s14, v10
	v_addc_co_u32_e32 v2, vcc, v11, v0, vcc
	v_add_co_u32_e32 v0, vcc, 8, v1
	v_or_b32_e32 v17, 1, v8
	v_or_b32_e32 v18, 2, v8
	;; [unrolled: 1-line block ×3, first 2 shown]
	v_addc_co_u32_e32 v1, vcc, 0, v2, vcc
	s_mov_b64 s[6:7], 0
	v_mov_b32_e32 v20, 0x201
	v_mov_b32_e32 v21, 0x400
	;; [unrolled: 1-line block ×5, first 2 shown]
	s_mov_b32 s11, s10
	s_branch .LBB24_9
.LBB24_8:                               ;   in Loop: Header=BB24_9 Depth=1
	s_or_b64 exec, exec, s[0:1]
	s_add_u32 s6, s6, 0x400
	s_addc_u32 s7, s7, 0
	s_addk_i32 s11, 0xfc00
	v_add_co_u32_e32 v0, vcc, 0x1000, v0
	s_cmp_lt_u32 s6, s10
	v_addc_co_u32_e32 v1, vcc, 0, v1, vcc
	s_cbranch_scc0 .LBB24_31
.LBB24_9:                               ; =>This Inner Loop Header: Depth=1
	v_add_co_u32_e32 v14, vcc, s6, v6
	s_waitcnt lgkmcnt(0)
	v_cmp_gt_u32_e32 vcc, v16, v14
	v_cndmask_b32_e32 v3, v23, v24, vcc
	v_lshlrev_b32_e32 v4, 2, v3
	ds_read_b32 v4, v4 offset:1024
	v_cndmask_b32_e64 v2, v20, 0, vcc
	v_cndmask_b32_e32 v5, v21, v22, vcc
	v_or_b32_e32 v10, 1, v3
	s_waitcnt lgkmcnt(0)
	v_cmp_gt_u32_e32 vcc, v4, v14
	v_cndmask_b32_e32 v2, v10, v2, vcc
	v_cndmask_b32_e32 v3, v5, v3, vcc
	v_sub_u32_e32 v4, v3, v2
	v_lshrrev_b16_e32 v5, 15, v4
	v_add_u16_e32 v4, v4, v5
	v_ashrrev_i16_e32 v4, 1, v4
	v_add_u32_sdwa v4, v2, sext(v4) dst_sel:DWORD dst_unused:UNUSED_PAD src0_sel:DWORD src1_sel:WORD_0
	v_min_i32_e32 v4, 0x3ff, v4
	v_lshlrev_b32_e32 v5, 2, v4
	ds_read_b32 v5, v5 offset:1024
	v_add_u32_e32 v10, 1, v4
	s_waitcnt lgkmcnt(0)
	v_cmp_gt_u32_e32 vcc, v5, v14
	v_cndmask_b32_e32 v2, v10, v2, vcc
	v_cndmask_b32_e32 v3, v3, v4, vcc
	v_sub_u32_e32 v4, v3, v2
	v_lshrrev_b16_e32 v5, 15, v4
	v_add_u16_e32 v4, v4, v5
	v_ashrrev_i16_e32 v4, 1, v4
	v_add_u32_sdwa v4, v2, sext(v4) dst_sel:DWORD dst_unused:UNUSED_PAD src0_sel:DWORD src1_sel:WORD_0
	v_min_i32_e32 v4, 0x3ff, v4
	v_lshlrev_b32_e32 v5, 2, v4
	ds_read_b32 v5, v5 offset:1024
	v_add_u32_e32 v10, 1, v4
	;; [unrolled: 13-line block ×9, first 2 shown]
	s_waitcnt lgkmcnt(0)
	v_cmp_gt_u32_e32 vcc, v4, v14
	v_cndmask_b32_e32 v15, v3, v2, vcc
	v_lshlrev_b32_e32 v10, 2, v15
	v_add_u32_e32 v2, 0x3fc, v10
	ds_read2_b32 v[4:5], v2 offset1:1
	v_add_u32_e32 v3, -1, v15
	ds_read_u8 v26, v3
	v_add_u32_e32 v2, 1, v14
	s_waitcnt lgkmcnt(1)
	v_sub_u32_e32 v3, 0, v4
	v_add_co_u32_e64 v4, s[0:1], v14, v3
	v_cmp_eq_u32_e32 vcc, v2, v5
	v_pk_mov_b32 v[2:3], v[4:5], v[4:5] op_sel:[0,1]
	s_waitcnt lgkmcnt(0)
	v_mov_b32_e32 v25, v26
	s_and_saveexec_b64 s[0:1], vcc
	s_cbranch_execz .LBB24_11
; %bb.10:                               ;   in Loop: Header=BB24_9 Depth=1
	ds_read_u8 v25, v15
	ds_read_b32 v10, v10 offset:1028
	v_add_u32_e32 v3, 1, v15
	v_sub_u32_e32 v2, 0, v5
	v_add_co_u32_e32 v2, vcc, v14, v2
	v_mov_b32_e32 v15, v3
	s_waitcnt lgkmcnt(0)
	v_mov_b32_e32 v5, v10
.LBB24_11:                              ;   in Loop: Header=BB24_9 Depth=1
	s_or_b64 exec, exec, s[0:1]
	v_add_u32_e32 v10, 2, v14
	v_cmp_eq_u32_e32 vcc, v10, v5
	v_pk_mov_b32 v[10:11], v[2:3], v[2:3] op_sel:[0,1]
	v_mov_b32_e32 v3, v25
	s_and_saveexec_b64 s[0:1], vcc
	s_cbranch_execz .LBB24_13
; %bb.12:                               ;   in Loop: Header=BB24_9 Depth=1
	v_add_u32_e32 v11, 1, v15
	v_lshlrev_b32_e32 v10, 2, v11
	ds_read_u8 v3, v15
	ds_read_b32 v12, v10 offset:1024
	v_sub_u32_e32 v5, 0, v5
	v_add_co_u32_e32 v10, vcc, v14, v5
	v_mov_b32_e32 v15, v11
	s_waitcnt lgkmcnt(0)
	v_mov_b32_e32 v5, v12
.LBB24_13:                              ;   in Loop: Header=BB24_9 Depth=1
	s_or_b64 exec, exec, s[0:1]
	v_add_u32_e32 v12, 3, v14
	v_cmp_eq_u32_e32 vcc, v12, v5
	v_pk_mov_b32 v[12:13], v[10:11], v[10:11] op_sel:[0,1]
	v_mov_b32_e32 v5, v3
	s_and_saveexec_b64 s[0:1], vcc
	s_cbranch_execz .LBB24_15
; %bb.14:                               ;   in Loop: Header=BB24_9 Depth=1
	v_lshlrev_b32_e32 v5, 2, v15
	ds_read_b32 v11, v5 offset:1024
	ds_read_u8 v5, v15
	s_waitcnt lgkmcnt(1)
	v_sub_u32_e32 v11, 0, v11
	v_add_co_u32_e32 v12, vcc, v14, v11
.LBB24_15:                              ;   in Loop: Header=BB24_9 Depth=1
	s_or_b64 exec, exec, s[0:1]
	v_mov_b32_e32 v11, s7
	v_add_co_u32_e32 v14, vcc, s6, v7
	s_min_u32 s8, s11, 0x400
	v_addc_co_u32_e32 v15, vcc, v9, v11, vcc
	v_cmp_gt_u32_e32 vcc, s8, v8
	s_and_saveexec_b64 s[0:1], vcc
	s_cbranch_execnz .LBB24_23
; %bb.16:                               ;   in Loop: Header=BB24_9 Depth=1
	s_or_b64 exec, exec, s[0:1]
	v_cmp_gt_u32_e64 s[0:1], s8, v17
	s_and_saveexec_b64 s[2:3], s[0:1]
	s_cbranch_execnz .LBB24_24
.LBB24_17:                              ;   in Loop: Header=BB24_9 Depth=1
	s_or_b64 exec, exec, s[2:3]
	v_cmp_gt_u32_e64 s[2:3], s8, v18
	s_and_saveexec_b64 s[4:5], s[2:3]
	s_cbranch_execnz .LBB24_25
.LBB24_18:                              ;   in Loop: Header=BB24_9 Depth=1
	s_or_b64 exec, exec, s[4:5]
	v_cmp_gt_u32_e64 s[4:5], s8, v19
	s_and_saveexec_b64 s[8:9], s[4:5]
	s_cbranch_execnz .LBB24_26
.LBB24_19:                              ;   in Loop: Header=BB24_9 Depth=1
	s_or_b64 exec, exec, s[8:9]
	s_and_saveexec_b64 s[8:9], vcc
	s_cbranch_execnz .LBB24_27
.LBB24_20:                              ;   in Loop: Header=BB24_9 Depth=1
	s_or_b64 exec, exec, s[8:9]
	s_and_saveexec_b64 s[8:9], s[0:1]
	s_cbranch_execnz .LBB24_28
.LBB24_21:                              ;   in Loop: Header=BB24_9 Depth=1
	s_or_b64 exec, exec, s[8:9]
	s_and_saveexec_b64 s[0:1], s[2:3]
	s_cbranch_execnz .LBB24_29
.LBB24_22:                              ;   in Loop: Header=BB24_9 Depth=1
	s_or_b64 exec, exec, s[0:1]
	s_and_saveexec_b64 s[0:1], s[4:5]
	s_cbranch_execz .LBB24_8
	s_branch .LBB24_30
.LBB24_23:                              ;   in Loop: Header=BB24_9 Depth=1
	global_store_byte v[14:15], v26, off
	s_or_b64 exec, exec, s[0:1]
	v_cmp_gt_u32_e64 s[0:1], s8, v17
	s_and_saveexec_b64 s[2:3], s[0:1]
	s_cbranch_execz .LBB24_17
.LBB24_24:                              ;   in Loop: Header=BB24_9 Depth=1
	global_store_byte v[14:15], v25, off offset:1
	s_or_b64 exec, exec, s[2:3]
	v_cmp_gt_u32_e64 s[2:3], s8, v18
	s_and_saveexec_b64 s[4:5], s[2:3]
	s_cbranch_execz .LBB24_18
.LBB24_25:                              ;   in Loop: Header=BB24_9 Depth=1
	global_store_byte v[14:15], v3, off offset:2
	s_or_b64 exec, exec, s[4:5]
	v_cmp_gt_u32_e64 s[4:5], s8, v19
	s_and_saveexec_b64 s[8:9], s[4:5]
	s_cbranch_execz .LBB24_19
.LBB24_26:                              ;   in Loop: Header=BB24_9 Depth=1
	s_waitcnt lgkmcnt(0)
	global_store_byte v[14:15], v5, off offset:3
	s_or_b64 exec, exec, s[8:9]
	s_and_saveexec_b64 s[8:9], vcc
	s_cbranch_execz .LBB24_20
.LBB24_27:                              ;   in Loop: Header=BB24_9 Depth=1
	global_store_dword v[0:1], v4, off offset:-8
	s_or_b64 exec, exec, s[8:9]
	s_and_saveexec_b64 s[8:9], s[0:1]
	s_cbranch_execz .LBB24_21
.LBB24_28:                              ;   in Loop: Header=BB24_9 Depth=1
	v_add_u32_e32 v2, 1, v2
	global_store_dword v[0:1], v2, off offset:-4
	s_or_b64 exec, exec, s[8:9]
	s_and_saveexec_b64 s[0:1], s[2:3]
	s_cbranch_execz .LBB24_22
.LBB24_29:                              ;   in Loop: Header=BB24_9 Depth=1
	v_add_u32_e32 v2, 2, v10
	global_store_dword v[0:1], v2, off
	s_or_b64 exec, exec, s[0:1]
	s_and_saveexec_b64 s[0:1], s[4:5]
	s_cbranch_execz .LBB24_8
.LBB24_30:                              ;   in Loop: Header=BB24_9 Depth=1
	v_add_u32_e32 v2, 3, v12
	global_store_dword v[0:1], v2, off offset:4
	s_branch .LBB24_8
.LBB24_31:
	s_endpgm
	.section	.rodata,"a",@progbits
	.p2align	6, 0x0
	.amdhsa_kernel _Z30block_run_length_decode_kernelIaiLj256ELj4ELj4EEvPKT_PKT0_PS0_PS3_
		.amdhsa_group_segment_fixed_size 5120
		.amdhsa_private_segment_fixed_size 0
		.amdhsa_kernarg_size 32
		.amdhsa_user_sgpr_count 6
		.amdhsa_user_sgpr_private_segment_buffer 1
		.amdhsa_user_sgpr_dispatch_ptr 0
		.amdhsa_user_sgpr_queue_ptr 0
		.amdhsa_user_sgpr_kernarg_segment_ptr 1
		.amdhsa_user_sgpr_dispatch_id 0
		.amdhsa_user_sgpr_flat_scratch_init 0
		.amdhsa_user_sgpr_kernarg_preload_length 0
		.amdhsa_user_sgpr_kernarg_preload_offset 0
		.amdhsa_user_sgpr_private_segment_size 0
		.amdhsa_uses_dynamic_stack 0
		.amdhsa_system_sgpr_private_segment_wavefront_offset 0
		.amdhsa_system_sgpr_workgroup_id_x 1
		.amdhsa_system_sgpr_workgroup_id_y 0
		.amdhsa_system_sgpr_workgroup_id_z 0
		.amdhsa_system_sgpr_workgroup_info 0
		.amdhsa_system_vgpr_workitem_id 0
		.amdhsa_next_free_vgpr 27
		.amdhsa_next_free_sgpr 16
		.amdhsa_accum_offset 28
		.amdhsa_reserve_vcc 1
		.amdhsa_reserve_flat_scratch 0
		.amdhsa_float_round_mode_32 0
		.amdhsa_float_round_mode_16_64 0
		.amdhsa_float_denorm_mode_32 3
		.amdhsa_float_denorm_mode_16_64 3
		.amdhsa_dx10_clamp 1
		.amdhsa_ieee_mode 1
		.amdhsa_fp16_overflow 0
		.amdhsa_tg_split 0
		.amdhsa_exception_fp_ieee_invalid_op 0
		.amdhsa_exception_fp_denorm_src 0
		.amdhsa_exception_fp_ieee_div_zero 0
		.amdhsa_exception_fp_ieee_overflow 0
		.amdhsa_exception_fp_ieee_underflow 0
		.amdhsa_exception_fp_ieee_inexact 0
		.amdhsa_exception_int_div_zero 0
	.end_amdhsa_kernel
	.section	.text._Z30block_run_length_decode_kernelIaiLj256ELj4ELj4EEvPKT_PKT0_PS0_PS3_,"axG",@progbits,_Z30block_run_length_decode_kernelIaiLj256ELj4ELj4EEvPKT_PKT0_PS0_PS3_,comdat
.Lfunc_end24:
	.size	_Z30block_run_length_decode_kernelIaiLj256ELj4ELj4EEvPKT_PKT0_PS0_PS3_, .Lfunc_end24-_Z30block_run_length_decode_kernelIaiLj256ELj4ELj4EEvPKT_PKT0_PS0_PS3_
                                        ; -- End function
	.section	.AMDGPU.csdata,"",@progbits
; Kernel info:
; codeLenInByte = 1960
; NumSgprs: 20
; NumVgprs: 27
; NumAgprs: 0
; TotalNumVgprs: 27
; ScratchSize: 0
; MemoryBound: 0
; FloatMode: 240
; IeeeMode: 1
; LDSByteSize: 5120 bytes/workgroup (compile time only)
; SGPRBlocks: 2
; VGPRBlocks: 3
; NumSGPRsForWavesPerEU: 20
; NumVGPRsForWavesPerEU: 27
; AccumOffset: 28
; Occupancy: 8
; WaveLimiterHint : 0
; COMPUTE_PGM_RSRC2:SCRATCH_EN: 0
; COMPUTE_PGM_RSRC2:USER_SGPR: 6
; COMPUTE_PGM_RSRC2:TRAP_HANDLER: 0
; COMPUTE_PGM_RSRC2:TGID_X_EN: 1
; COMPUTE_PGM_RSRC2:TGID_Y_EN: 0
; COMPUTE_PGM_RSRC2:TGID_Z_EN: 0
; COMPUTE_PGM_RSRC2:TIDIG_COMP_CNT: 0
; COMPUTE_PGM_RSRC3_GFX90A:ACCUM_OFFSET: 6
; COMPUTE_PGM_RSRC3_GFX90A:TG_SPLIT: 0
	.section	.text._Z30block_run_length_decode_kernelIiiLj256ELj4ELj4EEvPKT_PKT0_PS0_PS3_,"axG",@progbits,_Z30block_run_length_decode_kernelIiiLj256ELj4ELj4EEvPKT_PKT0_PS0_PS3_,comdat
	.protected	_Z30block_run_length_decode_kernelIiiLj256ELj4ELj4EEvPKT_PKT0_PS0_PS3_ ; -- Begin function _Z30block_run_length_decode_kernelIiiLj256ELj4ELj4EEvPKT_PKT0_PS0_PS3_
	.globl	_Z30block_run_length_decode_kernelIiiLj256ELj4ELj4EEvPKT_PKT0_PS0_PS3_
	.p2align	8
	.type	_Z30block_run_length_decode_kernelIiiLj256ELj4ELj4EEvPKT_PKT0_PS0_PS3_,@function
_Z30block_run_length_decode_kernelIiiLj256ELj4ELj4EEvPKT_PKT0_PS0_PS3_: ; @_Z30block_run_length_decode_kernelIiiLj256ELj4ELj4EEvPKT_PKT0_PS0_PS3_
; %bb.0:
	s_load_dwordx8 s[8:15], s[4:5], 0x0
	v_lshlrev_b32_e32 v14, 2, v0
	v_lshl_or_b32 v10, s6, 10, v14
	v_mov_b32_e32 v11, 0
	v_lshlrev_b64 v[12:13], 2, v[10:11]
	s_waitcnt lgkmcnt(0)
	v_mov_b32_e32 v1, s11
	v_add_co_u32_e32 v2, vcc, s10, v12
	v_addc_co_u32_e32 v3, vcc, v1, v13, vcc
	global_load_dwordx4 v[6:9], v[2:3], off
	v_mov_b32_e32 v1, s9
	v_add_co_u32_e32 v2, vcc, s8, v12
	v_addc_co_u32_e32 v3, vcc, v1, v13, vcc
	global_load_dwordx4 v[2:5], v[2:3], off
	v_mbcnt_lo_u32_b32 v1, -1, 0
	v_mbcnt_hi_u32_b32 v1, -1, v1
	v_and_b32_e32 v16, 15, v1
	v_cmp_ne_u32_e32 vcc, 0, v16
	v_bfe_i32 v17, v1, 4, 1
	v_or_b32_e32 v15, 63, v0
	v_lshrrev_b32_e32 v11, 6, v0
	s_waitcnt vmcnt(1)
	v_add_u32_e32 v18, v7, v6
	v_add3_u32 v9, v18, v8, v9
	s_nop 1
	v_mov_b32_dpp v18, v9 row_shr:1 row_mask:0xf bank_mask:0xf
	v_cndmask_b32_e32 v18, 0, v18, vcc
	v_add_u32_e32 v9, v18, v9
	v_cmp_lt_u32_e32 vcc, 1, v16
	s_nop 0
	v_mov_b32_dpp v18, v9 row_shr:2 row_mask:0xf bank_mask:0xf
	v_cndmask_b32_e32 v18, 0, v18, vcc
	v_add_u32_e32 v9, v9, v18
	v_cmp_lt_u32_e32 vcc, 3, v16
	;; [unrolled: 5-line block ×4, first 2 shown]
	s_nop 0
	v_mov_b32_dpp v16, v9 row_bcast:15 row_mask:0xf bank_mask:0xf
	v_and_b32_e32 v16, v17, v16
	v_add_u32_e32 v9, v9, v16
	s_nop 1
	v_mov_b32_dpp v16, v9 row_bcast:31 row_mask:0xf bank_mask:0xf
	v_cndmask_b32_e32 v16, 0, v16, vcc
	v_add_u32_e32 v9, v9, v16
	v_cmp_eq_u32_e32 vcc, v15, v0
	s_and_saveexec_b64 s[0:1], vcc
	s_cbranch_execz .LBB25_2
; %bb.1:
	v_lshlrev_b32_e32 v15, 2, v11
	ds_write_b32 v15, v9
.LBB25_2:
	s_or_b64 exec, exec, s[0:1]
	v_cmp_gt_u32_e32 vcc, 4, v0
	s_waitcnt lgkmcnt(0)
	s_barrier
	s_and_saveexec_b64 s[0:1], vcc
	s_cbranch_execz .LBB25_4
; %bb.3:
	ds_read_b32 v15, v14
	v_and_b32_e32 v16, 3, v1
	v_cmp_ne_u32_e32 vcc, 0, v16
	s_waitcnt lgkmcnt(0)
	v_mov_b32_dpp v17, v15 row_shr:1 row_mask:0xf bank_mask:0xf
	v_cndmask_b32_e32 v17, 0, v17, vcc
	v_add_u32_e32 v15, v17, v15
	v_cmp_lt_u32_e32 vcc, 1, v16
	s_nop 0
	v_mov_b32_dpp v17, v15 row_shr:2 row_mask:0xf bank_mask:0xf
	v_cndmask_b32_e32 v16, 0, v17, vcc
	v_add_u32_e32 v15, v15, v16
	ds_write_b32 v14, v15
.LBB25_4:
	s_or_b64 exec, exec, s[0:1]
	v_cmp_lt_u32_e32 vcc, 63, v0
	v_mov_b32_e32 v15, 0
	v_mov_b32_e32 v16, 0
	s_waitcnt lgkmcnt(0)
	s_barrier
	s_and_saveexec_b64 s[0:1], vcc
	s_cbranch_execz .LBB25_6
; %bb.5:
	v_lshl_add_u32 v11, v11, 2, -4
	ds_read_b32 v16, v11
.LBB25_6:
	s_or_b64 exec, exec, s[0:1]
	v_add_u32_e32 v11, -1, v1
	v_and_b32_e32 v17, 64, v1
	v_cmp_lt_i32_e32 vcc, v11, v17
	v_cndmask_b32_e32 v11, v11, v1, vcc
	s_waitcnt lgkmcnt(0)
	v_add_u32_e32 v9, v16, v9
	v_lshlrev_b32_e32 v11, 2, v11
	ds_bpermute_b32 v9, v11, v9
	v_cmp_eq_u32_e32 vcc, 0, v1
	s_mov_b32 s8, 0
	s_waitcnt lgkmcnt(0)
	v_cndmask_b32_e32 v1, v9, v16, vcc
	ds_read_b32 v9, v15 offset:12
	v_cmp_ne_u32_e32 vcc, 0, v0
	v_cndmask_b32_e32 v0, 0, v1, vcc
	v_add_u32_e32 v1, v0, v6
	v_add_u32_e32 v6, v1, v7
	s_waitcnt lgkmcnt(0)
	v_cmp_eq_u32_e32 vcc, 0, v9
	v_add_u32_e32 v7, v6, v8
	v_readfirstlane_b32 s9, v9
	v_lshlrev_b32_e32 v8, 2, v14
	s_and_b64 vcc, exec, vcc
	s_barrier
	v_or_b32_e32 v11, 0x1000, v8
	s_waitcnt vmcnt(0)
	ds_write2_b32 v8, v2, v3 offset1:1
	ds_write2_b32 v11, v0, v1 offset1:1
	v_add_u32_e32 v0, 0x1008, v8
	ds_write2_b32 v8, v4, v5 offset0:2 offset1:3
	ds_write2_b32 v0, v6, v7 offset1:1
	s_waitcnt lgkmcnt(0)
	s_barrier
	s_cbranch_vccnz .LBB25_31
; %bb.7:
	v_mov_b32_e32 v0, 0
	ds_read_b32 v4, v0 offset:6144
	v_or_b32_e32 v5, 1, v10
	v_or_b32_e32 v6, 2, v10
	;; [unrolled: 1-line block ×3, first 2 shown]
	v_mov_b32_e32 v8, 0x201
	v_mov_b32_e32 v9, 0x400
	;; [unrolled: 1-line block ×5, first 2 shown]
	s_mov_b32 s10, s9
	s_branch .LBB25_9
.LBB25_8:                               ;   in Loop: Header=BB25_9 Depth=1
	s_or_b64 exec, exec, s[0:1]
	s_addk_i32 s8, 0x400
	s_addk_i32 s10, 0xfc00
	s_add_u32 s14, s14, 0x1000
	s_addc_u32 s15, s15, 0
	s_add_u32 s12, s12, 0x1000
	s_addc_u32 s13, s13, 0
	s_cmp_lt_u32 s8, s9
	s_cbranch_scc0 .LBB25_31
.LBB25_9:                               ; =>This Inner Loop Header: Depth=1
	v_add_u32_e32 v2, s8, v14
	s_waitcnt lgkmcnt(0)
	v_cmp_gt_u32_e32 vcc, v4, v2
	v_cndmask_b32_e32 v1, v15, v16, vcc
	v_lshlrev_b32_e32 v3, 2, v1
	ds_read_b32 v3, v3 offset:4096
	v_cndmask_b32_e64 v0, v8, 0, vcc
	v_cndmask_b32_e32 v17, v9, v11, vcc
	v_or_b32_e32 v18, 1, v1
	s_waitcnt lgkmcnt(0)
	v_cmp_gt_u32_e32 vcc, v3, v2
	v_cndmask_b32_e32 v0, v18, v0, vcc
	v_cndmask_b32_e32 v1, v17, v1, vcc
	v_sub_u32_e32 v3, v1, v0
	v_lshrrev_b16_e32 v17, 15, v3
	v_add_u16_e32 v3, v3, v17
	v_ashrrev_i16_e32 v3, 1, v3
	v_add_u32_sdwa v3, v0, sext(v3) dst_sel:DWORD dst_unused:UNUSED_PAD src0_sel:DWORD src1_sel:WORD_0
	v_min_i32_e32 v3, 0x3ff, v3
	v_lshlrev_b32_e32 v17, 2, v3
	ds_read_b32 v17, v17 offset:4096
	v_add_u32_e32 v18, 1, v3
	s_waitcnt lgkmcnt(0)
	v_cmp_gt_u32_e32 vcc, v17, v2
	v_cndmask_b32_e32 v0, v18, v0, vcc
	v_cndmask_b32_e32 v1, v1, v3, vcc
	v_sub_u32_e32 v3, v1, v0
	v_lshrrev_b16_e32 v17, 15, v3
	v_add_u16_e32 v3, v3, v17
	v_ashrrev_i16_e32 v3, 1, v3
	v_add_u32_sdwa v3, v0, sext(v3) dst_sel:DWORD dst_unused:UNUSED_PAD src0_sel:DWORD src1_sel:WORD_0
	v_min_i32_e32 v3, 0x3ff, v3
	v_lshlrev_b32_e32 v17, 2, v3
	ds_read_b32 v17, v17 offset:4096
	v_add_u32_e32 v18, 1, v3
	;; [unrolled: 13-line block ×9, first 2 shown]
	s_waitcnt lgkmcnt(0)
	v_cmp_gt_u32_e32 vcc, v3, v2
	v_cndmask_b32_e32 v3, v1, v0, vcc
	v_lshlrev_b32_e32 v19, 2, v3
	v_add_u32_e32 v0, 0xffc, v19
	ds_read2_b32 v[0:1], v0 offset1:1
	v_add_u32_e32 v17, -4, v19
	ds_read_b32 v21, v17
	v_add_u32_e32 v17, 1, v2
	s_waitcnt lgkmcnt(1)
	v_sub_u32_e32 v18, v2, v0
	v_cmp_eq_u32_e32 vcc, v17, v1
	v_mov_b32_e32 v17, v18
	s_waitcnt lgkmcnt(0)
	v_mov_b32_e32 v22, v21
	s_and_saveexec_b64 s[0:1], vcc
	s_cbranch_execz .LBB25_11
; %bb.10:                               ;   in Loop: Header=BB25_9 Depth=1
	ds_read_b32 v0, v19 offset:4100
	ds_read_b32 v22, v19
	v_add_u32_e32 v3, 1, v3
	v_sub_u32_e32 v17, v2, v1
	s_waitcnt lgkmcnt(1)
	v_mov_b32_e32 v1, v0
.LBB25_11:                              ;   in Loop: Header=BB25_9 Depth=1
	s_or_b64 exec, exec, s[0:1]
	v_add_u32_e32 v0, 2, v2
	v_cmp_eq_u32_e32 vcc, v0, v1
	v_mov_b32_e32 v19, v17
	s_waitcnt lgkmcnt(0)
	v_mov_b32_e32 v23, v22
	s_and_saveexec_b64 s[0:1], vcc
	s_cbranch_execz .LBB25_13
; %bb.12:                               ;   in Loop: Header=BB25_9 Depth=1
	v_lshlrev_b32_e32 v0, 2, v3
	ds_read_b32 v20, v0 offset:4100
	ds_read_b32 v23, v0
	v_add_u32_e32 v3, 1, v3
	v_sub_u32_e32 v19, v2, v1
	s_waitcnt lgkmcnt(1)
	v_mov_b32_e32 v1, v20
.LBB25_13:                              ;   in Loop: Header=BB25_9 Depth=1
	s_or_b64 exec, exec, s[0:1]
	v_add_u32_e32 v0, 3, v2
	v_cmp_eq_u32_e32 vcc, v0, v1
	v_mov_b32_e32 v20, v19
	s_waitcnt lgkmcnt(0)
	v_mov_b32_e32 v0, v23
	s_and_saveexec_b64 s[0:1], vcc
	s_cbranch_execz .LBB25_15
; %bb.14:                               ;   in Loop: Header=BB25_9 Depth=1
	v_lshlrev_b32_e32 v0, 2, v3
	ds_read2st64_b32 v[0:1], v0 offset1:16
	s_waitcnt lgkmcnt(0)
	v_sub_u32_e32 v20, v2, v1
.LBB25_15:                              ;   in Loop: Header=BB25_9 Depth=1
	s_or_b64 exec, exec, s[0:1]
	v_mov_b32_e32 v1, s13
	v_add_co_u32_e32 v2, vcc, s12, v12
	s_min_u32 s6, s10, 0x400
	v_addc_co_u32_e32 v3, vcc, v1, v13, vcc
	v_cmp_gt_u32_e32 vcc, s6, v10
	s_and_saveexec_b64 s[0:1], vcc
	s_cbranch_execnz .LBB25_24
; %bb.16:                               ;   in Loop: Header=BB25_9 Depth=1
	s_or_b64 exec, exec, s[0:1]
	v_cmp_gt_u32_e64 s[0:1], s6, v5
	s_and_saveexec_b64 s[2:3], s[0:1]
	s_cbranch_execnz .LBB25_25
.LBB25_17:                              ;   in Loop: Header=BB25_9 Depth=1
	s_or_b64 exec, exec, s[2:3]
	v_cmp_gt_u32_e64 s[2:3], s6, v6
	s_and_saveexec_b64 s[4:5], s[2:3]
	s_cbranch_execnz .LBB25_26
.LBB25_18:                              ;   in Loop: Header=BB25_9 Depth=1
	s_or_b64 exec, exec, s[4:5]
	v_cmp_gt_u32_e64 s[4:5], s6, v7
	s_and_saveexec_b64 s[6:7], s[4:5]
	s_cbranch_execz .LBB25_20
.LBB25_19:                              ;   in Loop: Header=BB25_9 Depth=1
	global_store_dword v[2:3], v0, off offset:12
.LBB25_20:                              ;   in Loop: Header=BB25_9 Depth=1
	s_or_b64 exec, exec, s[6:7]
	v_mov_b32_e32 v1, s15
	v_add_co_u32_e64 v0, s[6:7], s14, v12
	v_addc_co_u32_e64 v1, s[6:7], v1, v13, s[6:7]
	s_and_saveexec_b64 s[6:7], vcc
	s_cbranch_execnz .LBB25_27
; %bb.21:                               ;   in Loop: Header=BB25_9 Depth=1
	s_or_b64 exec, exec, s[6:7]
	s_and_saveexec_b64 s[6:7], s[0:1]
	s_cbranch_execnz .LBB25_28
.LBB25_22:                              ;   in Loop: Header=BB25_9 Depth=1
	s_or_b64 exec, exec, s[6:7]
	s_and_saveexec_b64 s[0:1], s[2:3]
	s_cbranch_execnz .LBB25_29
.LBB25_23:                              ;   in Loop: Header=BB25_9 Depth=1
	s_or_b64 exec, exec, s[0:1]
	s_and_saveexec_b64 s[0:1], s[4:5]
	s_cbranch_execz .LBB25_8
	s_branch .LBB25_30
.LBB25_24:                              ;   in Loop: Header=BB25_9 Depth=1
	global_store_dword v[2:3], v21, off
	s_or_b64 exec, exec, s[0:1]
	v_cmp_gt_u32_e64 s[0:1], s6, v5
	s_and_saveexec_b64 s[2:3], s[0:1]
	s_cbranch_execz .LBB25_17
.LBB25_25:                              ;   in Loop: Header=BB25_9 Depth=1
	global_store_dword v[2:3], v22, off offset:4
	s_or_b64 exec, exec, s[2:3]
	v_cmp_gt_u32_e64 s[2:3], s6, v6
	s_and_saveexec_b64 s[4:5], s[2:3]
	s_cbranch_execz .LBB25_18
.LBB25_26:                              ;   in Loop: Header=BB25_9 Depth=1
	global_store_dword v[2:3], v23, off offset:8
	s_or_b64 exec, exec, s[4:5]
	v_cmp_gt_u32_e64 s[4:5], s6, v7
	s_and_saveexec_b64 s[6:7], s[4:5]
	s_cbranch_execnz .LBB25_19
	s_branch .LBB25_20
.LBB25_27:                              ;   in Loop: Header=BB25_9 Depth=1
	global_store_dword v[0:1], v18, off
	s_or_b64 exec, exec, s[6:7]
	s_and_saveexec_b64 s[6:7], s[0:1]
	s_cbranch_execz .LBB25_22
.LBB25_28:                              ;   in Loop: Header=BB25_9 Depth=1
	v_add_u32_e32 v2, 1, v17
	global_store_dword v[0:1], v2, off offset:4
	s_or_b64 exec, exec, s[6:7]
	s_and_saveexec_b64 s[0:1], s[2:3]
	s_cbranch_execz .LBB25_23
.LBB25_29:                              ;   in Loop: Header=BB25_9 Depth=1
	v_add_u32_e32 v2, 2, v19
	global_store_dword v[0:1], v2, off offset:8
	s_or_b64 exec, exec, s[0:1]
	s_and_saveexec_b64 s[0:1], s[4:5]
	s_cbranch_execz .LBB25_8
.LBB25_30:                              ;   in Loop: Header=BB25_9 Depth=1
	v_add_u32_e32 v2, 3, v20
	global_store_dword v[0:1], v2, off offset:12
	s_branch .LBB25_8
.LBB25_31:
	s_endpgm
	.section	.rodata,"a",@progbits
	.p2align	6, 0x0
	.amdhsa_kernel _Z30block_run_length_decode_kernelIiiLj256ELj4ELj4EEvPKT_PKT0_PS0_PS3_
		.amdhsa_group_segment_fixed_size 8192
		.amdhsa_private_segment_fixed_size 0
		.amdhsa_kernarg_size 32
		.amdhsa_user_sgpr_count 6
		.amdhsa_user_sgpr_private_segment_buffer 1
		.amdhsa_user_sgpr_dispatch_ptr 0
		.amdhsa_user_sgpr_queue_ptr 0
		.amdhsa_user_sgpr_kernarg_segment_ptr 1
		.amdhsa_user_sgpr_dispatch_id 0
		.amdhsa_user_sgpr_flat_scratch_init 0
		.amdhsa_user_sgpr_kernarg_preload_length 0
		.amdhsa_user_sgpr_kernarg_preload_offset 0
		.amdhsa_user_sgpr_private_segment_size 0
		.amdhsa_uses_dynamic_stack 0
		.amdhsa_system_sgpr_private_segment_wavefront_offset 0
		.amdhsa_system_sgpr_workgroup_id_x 1
		.amdhsa_system_sgpr_workgroup_id_y 0
		.amdhsa_system_sgpr_workgroup_id_z 0
		.amdhsa_system_sgpr_workgroup_info 0
		.amdhsa_system_vgpr_workitem_id 0
		.amdhsa_next_free_vgpr 24
		.amdhsa_next_free_sgpr 16
		.amdhsa_accum_offset 24
		.amdhsa_reserve_vcc 1
		.amdhsa_reserve_flat_scratch 0
		.amdhsa_float_round_mode_32 0
		.amdhsa_float_round_mode_16_64 0
		.amdhsa_float_denorm_mode_32 3
		.amdhsa_float_denorm_mode_16_64 3
		.amdhsa_dx10_clamp 1
		.amdhsa_ieee_mode 1
		.amdhsa_fp16_overflow 0
		.amdhsa_tg_split 0
		.amdhsa_exception_fp_ieee_invalid_op 0
		.amdhsa_exception_fp_denorm_src 0
		.amdhsa_exception_fp_ieee_div_zero 0
		.amdhsa_exception_fp_ieee_overflow 0
		.amdhsa_exception_fp_ieee_underflow 0
		.amdhsa_exception_fp_ieee_inexact 0
		.amdhsa_exception_int_div_zero 0
	.end_amdhsa_kernel
	.section	.text._Z30block_run_length_decode_kernelIiiLj256ELj4ELj4EEvPKT_PKT0_PS0_PS3_,"axG",@progbits,_Z30block_run_length_decode_kernelIiiLj256ELj4ELj4EEvPKT_PKT0_PS0_PS3_,comdat
.Lfunc_end25:
	.size	_Z30block_run_length_decode_kernelIiiLj256ELj4ELj4EEvPKT_PKT0_PS0_PS3_, .Lfunc_end25-_Z30block_run_length_decode_kernelIiiLj256ELj4ELj4EEvPKT_PKT0_PS0_PS3_
                                        ; -- End function
	.section	.AMDGPU.csdata,"",@progbits
; Kernel info:
; codeLenInByte = 1924
; NumSgprs: 20
; NumVgprs: 24
; NumAgprs: 0
; TotalNumVgprs: 24
; ScratchSize: 0
; MemoryBound: 0
; FloatMode: 240
; IeeeMode: 1
; LDSByteSize: 8192 bytes/workgroup (compile time only)
; SGPRBlocks: 2
; VGPRBlocks: 2
; NumSGPRsForWavesPerEU: 20
; NumVGPRsForWavesPerEU: 24
; AccumOffset: 24
; Occupancy: 8
; WaveLimiterHint : 0
; COMPUTE_PGM_RSRC2:SCRATCH_EN: 0
; COMPUTE_PGM_RSRC2:USER_SGPR: 6
; COMPUTE_PGM_RSRC2:TRAP_HANDLER: 0
; COMPUTE_PGM_RSRC2:TGID_X_EN: 1
; COMPUTE_PGM_RSRC2:TGID_Y_EN: 0
; COMPUTE_PGM_RSRC2:TGID_Z_EN: 0
; COMPUTE_PGM_RSRC2:TIDIG_COMP_CNT: 0
; COMPUTE_PGM_RSRC3_GFX90A:ACCUM_OFFSET: 5
; COMPUTE_PGM_RSRC3_GFX90A:TG_SPLIT: 0
	.text
	.p2alignl 6, 3212836864
	.fill 256, 4, 3212836864
	.type	__hip_cuid_551a403cc8c656fd,@object ; @__hip_cuid_551a403cc8c656fd
	.section	.bss,"aw",@nobits
	.globl	__hip_cuid_551a403cc8c656fd
__hip_cuid_551a403cc8c656fd:
	.byte	0                               ; 0x0
	.size	__hip_cuid_551a403cc8c656fd, 1

	.ident	"AMD clang version 19.0.0git (https://github.com/RadeonOpenCompute/llvm-project roc-6.4.0 25133 c7fe45cf4b819c5991fe208aaa96edf142730f1d)"
	.section	".note.GNU-stack","",@progbits
	.addrsig
	.addrsig_sym __hip_cuid_551a403cc8c656fd
	.amdgpu_metadata
---
amdhsa.kernels:
  - .agpr_count:     0
    .args:
      - .address_space:  global
        .offset:         0
        .size:           8
        .value_kind:     global_buffer
      - .address_space:  global
        .offset:         8
        .size:           8
        .value_kind:     global_buffer
      - .address_space:  global
        .offset:         16
        .size:           8
        .value_kind:     global_buffer
      - .address_space:  global
        .offset:         24
        .size:           8
        .value_kind:     global_buffer
    .group_segment_fixed_size: 13824
    .kernarg_segment_align: 8
    .kernarg_segment_size: 32
    .language:       OpenCL C
    .language_version:
      - 2
      - 0
    .max_flat_workgroup_size: 256
    .name:           _Z30block_run_length_decode_kernelI12hip_bfloat16iLj256ELj9ELj7EEvPKT_PKT0_PS1_PS4_
    .private_segment_fixed_size: 0
    .sgpr_count:     23
    .sgpr_spill_count: 0
    .symbol:         _Z30block_run_length_decode_kernelI12hip_bfloat16iLj256ELj9ELj7EEvPKT_PKT0_PS1_PS4_.kd
    .uniform_work_group_size: 1
    .uses_dynamic_stack: false
    .vgpr_count:     37
    .vgpr_spill_count: 0
    .wavefront_size: 64
  - .agpr_count:     0
    .args:
      - .address_space:  global
        .offset:         0
        .size:           8
        .value_kind:     global_buffer
      - .address_space:  global
        .offset:         8
        .size:           8
        .value_kind:     global_buffer
      - .address_space:  global
        .offset:         16
        .size:           8
        .value_kind:     global_buffer
      - .address_space:  global
        .offset:         24
        .size:           8
        .value_kind:     global_buffer
    .group_segment_fixed_size: 13824
    .kernarg_segment_align: 8
    .kernarg_segment_size: 32
    .language:       OpenCL C
    .language_version:
      - 2
      - 0
    .max_flat_workgroup_size: 256
    .name:           _Z30block_run_length_decode_kernelI6__halfiLj256ELj9ELj7EEvPKT_PKT0_PS1_PS4_
    .private_segment_fixed_size: 0
    .sgpr_count:     23
    .sgpr_spill_count: 0
    .symbol:         _Z30block_run_length_decode_kernelI6__halfiLj256ELj9ELj7EEvPKT_PKT0_PS1_PS4_.kd
    .uniform_work_group_size: 1
    .uses_dynamic_stack: false
    .vgpr_count:     37
    .vgpr_spill_count: 0
    .wavefront_size: 64
  - .agpr_count:     0
    .args:
      - .address_space:  global
        .offset:         0
        .size:           8
        .value_kind:     global_buffer
      - .address_space:  global
        .offset:         8
        .size:           8
        .value_kind:     global_buffer
      - .address_space:  global
        .offset:         16
        .size:           8
        .value_kind:     global_buffer
      - .address_space:  global
        .offset:         24
        .size:           8
        .value_kind:     global_buffer
    .group_segment_fixed_size: 18432
    .kernarg_segment_align: 8
    .kernarg_segment_size: 32
    .language:       OpenCL C
    .language_version:
      - 2
      - 0
    .max_flat_workgroup_size: 256
    .name:           _Z30block_run_length_decode_kernelIfiLj256ELj9ELj7EEvPKT_PKT0_PS0_PS3_
    .private_segment_fixed_size: 0
    .sgpr_count:     24
    .sgpr_spill_count: 0
    .symbol:         _Z30block_run_length_decode_kernelIfiLj256ELj9ELj7EEvPKT_PKT0_PS0_PS3_.kd
    .uniform_work_group_size: 1
    .uses_dynamic_stack: false
    .vgpr_count:     35
    .vgpr_spill_count: 0
    .wavefront_size: 64
  - .agpr_count:     0
    .args:
      - .address_space:  global
        .offset:         0
        .size:           8
        .value_kind:     global_buffer
      - .address_space:  global
        .offset:         8
        .size:           8
        .value_kind:     global_buffer
      - .address_space:  global
        .offset:         16
        .size:           8
        .value_kind:     global_buffer
      - .address_space:  global
        .offset:         24
        .size:           8
        .value_kind:     global_buffer
    .group_segment_fixed_size: 11520
    .kernarg_segment_align: 8
    .kernarg_segment_size: 32
    .language:       OpenCL C
    .language_version:
      - 2
      - 0
    .max_flat_workgroup_size: 256
    .name:           _Z30block_run_length_decode_kernelIcxLj256ELj9ELj7EEvPKT_PKT0_PS0_PS3_
    .private_segment_fixed_size: 0
    .sgpr_count:     23
    .sgpr_spill_count: 0
    .symbol:         _Z30block_run_length_decode_kernelIcxLj256ELj9ELj7EEvPKT_PKT0_PS0_PS3_.kd
    .uniform_work_group_size: 1
    .uses_dynamic_stack: false
    .vgpr_count:     37
    .vgpr_spill_count: 0
    .wavefront_size: 64
  - .agpr_count:     0
    .args:
      - .address_space:  global
        .offset:         0
        .size:           8
        .value_kind:     global_buffer
      - .address_space:  global
        .offset:         8
        .size:           8
        .value_kind:     global_buffer
      - .address_space:  global
        .offset:         16
        .size:           8
        .value_kind:     global_buffer
      - .address_space:  global
        .offset:         24
        .size:           8
        .value_kind:     global_buffer
    .group_segment_fixed_size: 27648
    .kernarg_segment_align: 8
    .kernarg_segment_size: 32
    .language:       OpenCL C
    .language_version:
      - 2
      - 0
    .max_flat_workgroup_size: 256
    .name:           _Z30block_run_length_decode_kernelIdcLj256ELj9ELj7EEvPKT_PKT0_PS0_PS3_
    .private_segment_fixed_size: 0
    .sgpr_count:     23
    .sgpr_spill_count: 0
    .symbol:         _Z30block_run_length_decode_kernelIdcLj256ELj9ELj7EEvPKT_PKT0_PS0_PS3_.kd
    .uniform_work_group_size: 1
    .uses_dynamic_stack: false
    .vgpr_count:     42
    .vgpr_spill_count: 0
    .wavefront_size: 64
  - .agpr_count:     0
    .args:
      - .address_space:  global
        .offset:         0
        .size:           8
        .value_kind:     global_buffer
      - .address_space:  global
        .offset:         8
        .size:           8
        .value_kind:     global_buffer
      - .address_space:  global
        .offset:         16
        .size:           8
        .value_kind:     global_buffer
      - .address_space:  global
        .offset:         24
        .size:           8
        .value_kind:     global_buffer
    .group_segment_fixed_size: 18432
    .kernarg_segment_align: 8
    .kernarg_segment_size: 32
    .language:       OpenCL C
    .language_version:
      - 2
      - 0
    .max_flat_workgroup_size: 256
    .name:           _Z30block_run_length_decode_kernelIiiLj256ELj9ELj7EEvPKT_PKT0_PS0_PS3_
    .private_segment_fixed_size: 0
    .sgpr_count:     24
    .sgpr_spill_count: 0
    .symbol:         _Z30block_run_length_decode_kernelIiiLj256ELj9ELj7EEvPKT_PKT0_PS0_PS3_.kd
    .uniform_work_group_size: 1
    .uses_dynamic_stack: false
    .vgpr_count:     35
    .vgpr_spill_count: 0
    .wavefront_size: 64
  - .agpr_count:     0
    .args:
      - .address_space:  global
        .offset:         0
        .size:           8
        .value_kind:     global_buffer
      - .address_space:  global
        .offset:         8
        .size:           8
        .value_kind:     global_buffer
      - .address_space:  global
        .offset:         16
        .size:           8
        .value_kind:     global_buffer
      - .address_space:  global
        .offset:         24
        .size:           8
        .value_kind:     global_buffer
    .group_segment_fixed_size: 1536
    .kernarg_segment_align: 8
    .kernarg_segment_size: 32
    .language:       OpenCL C
    .language_version:
      - 2
      - 0
    .max_flat_workgroup_size: 256
    .name:           _Z30block_run_length_decode_kernelI12hip_bfloat16iLj256ELj1ELj14EEvPKT_PKT0_PS1_PS4_
    .private_segment_fixed_size: 0
    .sgpr_count:     36
    .sgpr_spill_count: 0
    .symbol:         _Z30block_run_length_decode_kernelI12hip_bfloat16iLj256ELj1ELj14EEvPKT_PKT0_PS1_PS4_.kd
    .uniform_work_group_size: 1
    .uses_dynamic_stack: false
    .vgpr_count:     56
    .vgpr_spill_count: 0
    .wavefront_size: 64
  - .agpr_count:     0
    .args:
      - .address_space:  global
        .offset:         0
        .size:           8
        .value_kind:     global_buffer
      - .address_space:  global
        .offset:         8
        .size:           8
        .value_kind:     global_buffer
      - .address_space:  global
        .offset:         16
        .size:           8
        .value_kind:     global_buffer
      - .address_space:  global
        .offset:         24
        .size:           8
        .value_kind:     global_buffer
    .group_segment_fixed_size: 1536
    .kernarg_segment_align: 8
    .kernarg_segment_size: 32
    .language:       OpenCL C
    .language_version:
      - 2
      - 0
    .max_flat_workgroup_size: 256
    .name:           _Z30block_run_length_decode_kernelI6__halfiLj256ELj1ELj14EEvPKT_PKT0_PS1_PS4_
    .private_segment_fixed_size: 0
    .sgpr_count:     36
    .sgpr_spill_count: 0
    .symbol:         _Z30block_run_length_decode_kernelI6__halfiLj256ELj1ELj14EEvPKT_PKT0_PS1_PS4_.kd
    .uniform_work_group_size: 1
    .uses_dynamic_stack: false
    .vgpr_count:     56
    .vgpr_spill_count: 0
    .wavefront_size: 64
  - .agpr_count:     0
    .args:
      - .address_space:  global
        .offset:         0
        .size:           8
        .value_kind:     global_buffer
      - .address_space:  global
        .offset:         8
        .size:           8
        .value_kind:     global_buffer
      - .address_space:  global
        .offset:         16
        .size:           8
        .value_kind:     global_buffer
      - .address_space:  global
        .offset:         24
        .size:           8
        .value_kind:     global_buffer
    .group_segment_fixed_size: 2048
    .kernarg_segment_align: 8
    .kernarg_segment_size: 32
    .language:       OpenCL C
    .language_version:
      - 2
      - 0
    .max_flat_workgroup_size: 256
    .name:           _Z30block_run_length_decode_kernelIfiLj256ELj1ELj14EEvPKT_PKT0_PS0_PS3_
    .private_segment_fixed_size: 0
    .sgpr_count:     39
    .sgpr_spill_count: 0
    .symbol:         _Z30block_run_length_decode_kernelIfiLj256ELj1ELj14EEvPKT_PKT0_PS0_PS3_.kd
    .uniform_work_group_size: 1
    .uses_dynamic_stack: false
    .vgpr_count:     55
    .vgpr_spill_count: 0
    .wavefront_size: 64
  - .agpr_count:     0
    .args:
      - .address_space:  global
        .offset:         0
        .size:           8
        .value_kind:     global_buffer
      - .address_space:  global
        .offset:         8
        .size:           8
        .value_kind:     global_buffer
      - .address_space:  global
        .offset:         16
        .size:           8
        .value_kind:     global_buffer
      - .address_space:  global
        .offset:         24
        .size:           8
        .value_kind:     global_buffer
    .group_segment_fixed_size: 1280
    .kernarg_segment_align: 8
    .kernarg_segment_size: 32
    .language:       OpenCL C
    .language_version:
      - 2
      - 0
    .max_flat_workgroup_size: 256
    .name:           _Z30block_run_length_decode_kernelIcxLj256ELj1ELj14EEvPKT_PKT0_PS0_PS3_
    .private_segment_fixed_size: 0
    .sgpr_count:     38
    .sgpr_spill_count: 0
    .symbol:         _Z30block_run_length_decode_kernelIcxLj256ELj1ELj14EEvPKT_PKT0_PS0_PS3_.kd
    .uniform_work_group_size: 1
    .uses_dynamic_stack: false
    .vgpr_count:     57
    .vgpr_spill_count: 0
    .wavefront_size: 64
  - .agpr_count:     0
    .args:
      - .address_space:  global
        .offset:         0
        .size:           8
        .value_kind:     global_buffer
      - .address_space:  global
        .offset:         8
        .size:           8
        .value_kind:     global_buffer
      - .address_space:  global
        .offset:         16
        .size:           8
        .value_kind:     global_buffer
      - .address_space:  global
        .offset:         24
        .size:           8
        .value_kind:     global_buffer
    .group_segment_fixed_size: 3072
    .kernarg_segment_align: 8
    .kernarg_segment_size: 32
    .language:       OpenCL C
    .language_version:
      - 2
      - 0
    .max_flat_workgroup_size: 256
    .name:           _Z30block_run_length_decode_kernelIdcLj256ELj1ELj14EEvPKT_PKT0_PS0_PS3_
    .private_segment_fixed_size: 0
    .sgpr_count:     36
    .sgpr_spill_count: 0
    .symbol:         _Z30block_run_length_decode_kernelIdcLj256ELj1ELj14EEvPKT_PKT0_PS0_PS3_.kd
    .uniform_work_group_size: 1
    .uses_dynamic_stack: false
    .vgpr_count:     69
    .vgpr_spill_count: 0
    .wavefront_size: 64
  - .agpr_count:     0
    .args:
      - .address_space:  global
        .offset:         0
        .size:           8
        .value_kind:     global_buffer
      - .address_space:  global
        .offset:         8
        .size:           8
        .value_kind:     global_buffer
      - .address_space:  global
        .offset:         16
        .size:           8
        .value_kind:     global_buffer
      - .address_space:  global
        .offset:         24
        .size:           8
        .value_kind:     global_buffer
    .group_segment_fixed_size: 2048
    .kernarg_segment_align: 8
    .kernarg_segment_size: 32
    .language:       OpenCL C
    .language_version:
      - 2
      - 0
    .max_flat_workgroup_size: 256
    .name:           _Z30block_run_length_decode_kernelIiiLj256ELj1ELj14EEvPKT_PKT0_PS0_PS3_
    .private_segment_fixed_size: 0
    .sgpr_count:     39
    .sgpr_spill_count: 0
    .symbol:         _Z30block_run_length_decode_kernelIiiLj256ELj1ELj14EEvPKT_PKT0_PS0_PS3_.kd
    .uniform_work_group_size: 1
    .uses_dynamic_stack: false
    .vgpr_count:     55
    .vgpr_spill_count: 0
    .wavefront_size: 64
  - .agpr_count:     0
    .args:
      - .address_space:  global
        .offset:         0
        .size:           8
        .value_kind:     global_buffer
      - .address_space:  global
        .offset:         8
        .size:           8
        .value_kind:     global_buffer
      - .address_space:  global
        .offset:         16
        .size:           8
        .value_kind:     global_buffer
      - .address_space:  global
        .offset:         24
        .size:           8
        .value_kind:     global_buffer
    .group_segment_fixed_size: 12288
    .kernarg_segment_align: 8
    .kernarg_segment_size: 32
    .language:       OpenCL C
    .language_version:
      - 2
      - 0
    .max_flat_workgroup_size: 256
    .name:           _Z30block_run_length_decode_kernelI12hip_bfloat16iLj256ELj8ELj8EEvPKT_PKT0_PS1_PS4_
    .private_segment_fixed_size: 0
    .sgpr_count:     23
    .sgpr_spill_count: 0
    .symbol:         _Z30block_run_length_decode_kernelI12hip_bfloat16iLj256ELj8ELj8EEvPKT_PKT0_PS1_PS4_.kd
    .uniform_work_group_size: 1
    .uses_dynamic_stack: false
    .vgpr_count:     38
    .vgpr_spill_count: 0
    .wavefront_size: 64
  - .agpr_count:     0
    .args:
      - .address_space:  global
        .offset:         0
        .size:           8
        .value_kind:     global_buffer
      - .address_space:  global
        .offset:         8
        .size:           8
        .value_kind:     global_buffer
      - .address_space:  global
        .offset:         16
        .size:           8
        .value_kind:     global_buffer
      - .address_space:  global
        .offset:         24
        .size:           8
        .value_kind:     global_buffer
    .group_segment_fixed_size: 12288
    .kernarg_segment_align: 8
    .kernarg_segment_size: 32
    .language:       OpenCL C
    .language_version:
      - 2
      - 0
    .max_flat_workgroup_size: 256
    .name:           _Z30block_run_length_decode_kernelI6__halfiLj256ELj8ELj8EEvPKT_PKT0_PS1_PS4_
    .private_segment_fixed_size: 0
    .sgpr_count:     23
    .sgpr_spill_count: 0
    .symbol:         _Z30block_run_length_decode_kernelI6__halfiLj256ELj8ELj8EEvPKT_PKT0_PS1_PS4_.kd
    .uniform_work_group_size: 1
    .uses_dynamic_stack: false
    .vgpr_count:     38
    .vgpr_spill_count: 0
    .wavefront_size: 64
  - .agpr_count:     0
    .args:
      - .address_space:  global
        .offset:         0
        .size:           8
        .value_kind:     global_buffer
      - .address_space:  global
        .offset:         8
        .size:           8
        .value_kind:     global_buffer
      - .address_space:  global
        .offset:         16
        .size:           8
        .value_kind:     global_buffer
      - .address_space:  global
        .offset:         24
        .size:           8
        .value_kind:     global_buffer
    .group_segment_fixed_size: 16384
    .kernarg_segment_align: 8
    .kernarg_segment_size: 32
    .language:       OpenCL C
    .language_version:
      - 2
      - 0
    .max_flat_workgroup_size: 256
    .name:           _Z30block_run_length_decode_kernelIfiLj256ELj8ELj8EEvPKT_PKT0_PS0_PS3_
    .private_segment_fixed_size: 0
    .sgpr_count:     27
    .sgpr_spill_count: 0
    .symbol:         _Z30block_run_length_decode_kernelIfiLj256ELj8ELj8EEvPKT_PKT0_PS0_PS3_.kd
    .uniform_work_group_size: 1
    .uses_dynamic_stack: false
    .vgpr_count:     36
    .vgpr_spill_count: 0
    .wavefront_size: 64
  - .agpr_count:     0
    .args:
      - .address_space:  global
        .offset:         0
        .size:           8
        .value_kind:     global_buffer
      - .address_space:  global
        .offset:         8
        .size:           8
        .value_kind:     global_buffer
      - .address_space:  global
        .offset:         16
        .size:           8
        .value_kind:     global_buffer
      - .address_space:  global
        .offset:         24
        .size:           8
        .value_kind:     global_buffer
    .group_segment_fixed_size: 10240
    .kernarg_segment_align: 8
    .kernarg_segment_size: 32
    .language:       OpenCL C
    .language_version:
      - 2
      - 0
    .max_flat_workgroup_size: 256
    .name:           _Z30block_run_length_decode_kernelIcxLj256ELj8ELj8EEvPKT_PKT0_PS0_PS3_
    .private_segment_fixed_size: 0
    .sgpr_count:     25
    .sgpr_spill_count: 0
    .symbol:         _Z30block_run_length_decode_kernelIcxLj256ELj8ELj8EEvPKT_PKT0_PS0_PS3_.kd
    .uniform_work_group_size: 1
    .uses_dynamic_stack: false
    .vgpr_count:     39
    .vgpr_spill_count: 0
    .wavefront_size: 64
  - .agpr_count:     0
    .args:
      - .address_space:  global
        .offset:         0
        .size:           8
        .value_kind:     global_buffer
      - .address_space:  global
        .offset:         8
        .size:           8
        .value_kind:     global_buffer
      - .address_space:  global
        .offset:         16
        .size:           8
        .value_kind:     global_buffer
      - .address_space:  global
        .offset:         24
        .size:           8
        .value_kind:     global_buffer
    .group_segment_fixed_size: 24576
    .kernarg_segment_align: 8
    .kernarg_segment_size: 32
    .language:       OpenCL C
    .language_version:
      - 2
      - 0
    .max_flat_workgroup_size: 256
    .name:           _Z30block_run_length_decode_kernelIdcLj256ELj8ELj8EEvPKT_PKT0_PS0_PS3_
    .private_segment_fixed_size: 0
    .sgpr_count:     24
    .sgpr_spill_count: 0
    .symbol:         _Z30block_run_length_decode_kernelIdcLj256ELj8ELj8EEvPKT_PKT0_PS0_PS3_.kd
    .uniform_work_group_size: 1
    .uses_dynamic_stack: false
    .vgpr_count:     53
    .vgpr_spill_count: 0
    .wavefront_size: 64
  - .agpr_count:     0
    .args:
      - .address_space:  global
        .offset:         0
        .size:           8
        .value_kind:     global_buffer
      - .address_space:  global
        .offset:         8
        .size:           8
        .value_kind:     global_buffer
      - .address_space:  global
        .offset:         16
        .size:           8
        .value_kind:     global_buffer
      - .address_space:  global
        .offset:         24
        .size:           8
        .value_kind:     global_buffer
    .group_segment_fixed_size: 16384
    .kernarg_segment_align: 8
    .kernarg_segment_size: 32
    .language:       OpenCL C
    .language_version:
      - 2
      - 0
    .max_flat_workgroup_size: 256
    .name:           _Z30block_run_length_decode_kernelIiiLj256ELj8ELj8EEvPKT_PKT0_PS0_PS3_
    .private_segment_fixed_size: 0
    .sgpr_count:     27
    .sgpr_spill_count: 0
    .symbol:         _Z30block_run_length_decode_kernelIiiLj256ELj8ELj8EEvPKT_PKT0_PS0_PS3_.kd
    .uniform_work_group_size: 1
    .uses_dynamic_stack: false
    .vgpr_count:     36
    .vgpr_spill_count: 0
    .wavefront_size: 64
  - .agpr_count:     0
    .args:
      - .address_space:  global
        .offset:         0
        .size:           8
        .value_kind:     global_buffer
      - .address_space:  global
        .offset:         8
        .size:           8
        .value_kind:     global_buffer
      - .address_space:  global
        .offset:         16
        .size:           8
        .value_kind:     global_buffer
      - .address_space:  global
        .offset:         24
        .size:           8
        .value_kind:     global_buffer
    .group_segment_fixed_size: 6144
    .kernarg_segment_align: 8
    .kernarg_segment_size: 32
    .language:       OpenCL C
    .language_version:
      - 2
      - 0
    .max_flat_workgroup_size: 256
    .name:           _Z30block_run_length_decode_kernelI12hip_bfloat16iLj256ELj4ELj4EEvPKT_PKT0_PS1_PS4_
    .private_segment_fixed_size: 0
    .sgpr_count:     20
    .sgpr_spill_count: 0
    .symbol:         _Z30block_run_length_decode_kernelI12hip_bfloat16iLj256ELj4ELj4EEvPKT_PKT0_PS1_PS4_.kd
    .uniform_work_group_size: 1
    .uses_dynamic_stack: false
    .vgpr_count:     25
    .vgpr_spill_count: 0
    .wavefront_size: 64
  - .agpr_count:     0
    .args:
      - .address_space:  global
        .offset:         0
        .size:           8
        .value_kind:     global_buffer
      - .address_space:  global
        .offset:         8
        .size:           8
        .value_kind:     global_buffer
      - .address_space:  global
        .offset:         16
        .size:           8
        .value_kind:     global_buffer
      - .address_space:  global
        .offset:         24
        .size:           8
        .value_kind:     global_buffer
    .group_segment_fixed_size: 6144
    .kernarg_segment_align: 8
    .kernarg_segment_size: 32
    .language:       OpenCL C
    .language_version:
      - 2
      - 0
    .max_flat_workgroup_size: 256
    .name:           _Z30block_run_length_decode_kernelI6__halfiLj256ELj4ELj4EEvPKT_PKT0_PS1_PS4_
    .private_segment_fixed_size: 0
    .sgpr_count:     20
    .sgpr_spill_count: 0
    .symbol:         _Z30block_run_length_decode_kernelI6__halfiLj256ELj4ELj4EEvPKT_PKT0_PS1_PS4_.kd
    .uniform_work_group_size: 1
    .uses_dynamic_stack: false
    .vgpr_count:     26
    .vgpr_spill_count: 0
    .wavefront_size: 64
  - .agpr_count:     0
    .args:
      - .address_space:  global
        .offset:         0
        .size:           8
        .value_kind:     global_buffer
      - .address_space:  global
        .offset:         8
        .size:           8
        .value_kind:     global_buffer
      - .address_space:  global
        .offset:         16
        .size:           8
        .value_kind:     global_buffer
      - .address_space:  global
        .offset:         24
        .size:           8
        .value_kind:     global_buffer
    .group_segment_fixed_size: 8192
    .kernarg_segment_align: 8
    .kernarg_segment_size: 32
    .language:       OpenCL C
    .language_version:
      - 2
      - 0
    .max_flat_workgroup_size: 256
    .name:           _Z30block_run_length_decode_kernelIfiLj256ELj4ELj4EEvPKT_PKT0_PS0_PS3_
    .private_segment_fixed_size: 0
    .sgpr_count:     20
    .sgpr_spill_count: 0
    .symbol:         _Z30block_run_length_decode_kernelIfiLj256ELj4ELj4EEvPKT_PKT0_PS0_PS3_.kd
    .uniform_work_group_size: 1
    .uses_dynamic_stack: false
    .vgpr_count:     24
    .vgpr_spill_count: 0
    .wavefront_size: 64
  - .agpr_count:     0
    .args:
      - .address_space:  global
        .offset:         0
        .size:           8
        .value_kind:     global_buffer
      - .address_space:  global
        .offset:         8
        .size:           8
        .value_kind:     global_buffer
      - .address_space:  global
        .offset:         16
        .size:           8
        .value_kind:     global_buffer
      - .address_space:  global
        .offset:         24
        .size:           8
        .value_kind:     global_buffer
    .group_segment_fixed_size: 5120
    .kernarg_segment_align: 8
    .kernarg_segment_size: 32
    .language:       OpenCL C
    .language_version:
      - 2
      - 0
    .max_flat_workgroup_size: 256
    .name:           _Z30block_run_length_decode_kernelIcxLj256ELj4ELj4EEvPKT_PKT0_PS0_PS3_
    .private_segment_fixed_size: 0
    .sgpr_count:     20
    .sgpr_spill_count: 0
    .symbol:         _Z30block_run_length_decode_kernelIcxLj256ELj4ELj4EEvPKT_PKT0_PS0_PS3_.kd
    .uniform_work_group_size: 1
    .uses_dynamic_stack: false
    .vgpr_count:     27
    .vgpr_spill_count: 0
    .wavefront_size: 64
  - .agpr_count:     0
    .args:
      - .address_space:  global
        .offset:         0
        .size:           8
        .value_kind:     global_buffer
      - .address_space:  global
        .offset:         8
        .size:           8
        .value_kind:     global_buffer
      - .address_space:  global
        .offset:         16
        .size:           8
        .value_kind:     global_buffer
      - .address_space:  global
        .offset:         24
        .size:           8
        .value_kind:     global_buffer
    .group_segment_fixed_size: 12288
    .kernarg_segment_align: 8
    .kernarg_segment_size: 32
    .language:       OpenCL C
    .language_version:
      - 2
      - 0
    .max_flat_workgroup_size: 256
    .name:           _Z30block_run_length_decode_kernelIdcLj256ELj4ELj4EEvPKT_PKT0_PS0_PS3_
    .private_segment_fixed_size: 0
    .sgpr_count:     20
    .sgpr_spill_count: 0
    .symbol:         _Z30block_run_length_decode_kernelIdcLj256ELj4ELj4EEvPKT_PKT0_PS0_PS3_.kd
    .uniform_work_group_size: 1
    .uses_dynamic_stack: false
    .vgpr_count:     32
    .vgpr_spill_count: 0
    .wavefront_size: 64
  - .agpr_count:     0
    .args:
      - .address_space:  global
        .offset:         0
        .size:           8
        .value_kind:     global_buffer
      - .address_space:  global
        .offset:         8
        .size:           8
        .value_kind:     global_buffer
      - .address_space:  global
        .offset:         16
        .size:           8
        .value_kind:     global_buffer
      - .address_space:  global
        .offset:         24
        .size:           8
        .value_kind:     global_buffer
    .group_segment_fixed_size: 5120
    .kernarg_segment_align: 8
    .kernarg_segment_size: 32
    .language:       OpenCL C
    .language_version:
      - 2
      - 0
    .max_flat_workgroup_size: 256
    .name:           _Z30block_run_length_decode_kernelIhiLj256ELj4ELj4EEvPKT_PKT0_PS0_PS3_
    .private_segment_fixed_size: 0
    .sgpr_count:     20
    .sgpr_spill_count: 0
    .symbol:         _Z30block_run_length_decode_kernelIhiLj256ELj4ELj4EEvPKT_PKT0_PS0_PS3_.kd
    .uniform_work_group_size: 1
    .uses_dynamic_stack: false
    .vgpr_count:     27
    .vgpr_spill_count: 0
    .wavefront_size: 64
  - .agpr_count:     0
    .args:
      - .address_space:  global
        .offset:         0
        .size:           8
        .value_kind:     global_buffer
      - .address_space:  global
        .offset:         8
        .size:           8
        .value_kind:     global_buffer
      - .address_space:  global
        .offset:         16
        .size:           8
        .value_kind:     global_buffer
      - .address_space:  global
        .offset:         24
        .size:           8
        .value_kind:     global_buffer
    .group_segment_fixed_size: 5120
    .kernarg_segment_align: 8
    .kernarg_segment_size: 32
    .language:       OpenCL C
    .language_version:
      - 2
      - 0
    .max_flat_workgroup_size: 256
    .name:           _Z30block_run_length_decode_kernelIaiLj256ELj4ELj4EEvPKT_PKT0_PS0_PS3_
    .private_segment_fixed_size: 0
    .sgpr_count:     20
    .sgpr_spill_count: 0
    .symbol:         _Z30block_run_length_decode_kernelIaiLj256ELj4ELj4EEvPKT_PKT0_PS0_PS3_.kd
    .uniform_work_group_size: 1
    .uses_dynamic_stack: false
    .vgpr_count:     27
    .vgpr_spill_count: 0
    .wavefront_size: 64
  - .agpr_count:     0
    .args:
      - .address_space:  global
        .offset:         0
        .size:           8
        .value_kind:     global_buffer
      - .address_space:  global
        .offset:         8
        .size:           8
        .value_kind:     global_buffer
      - .address_space:  global
        .offset:         16
        .size:           8
        .value_kind:     global_buffer
      - .address_space:  global
        .offset:         24
        .size:           8
        .value_kind:     global_buffer
    .group_segment_fixed_size: 8192
    .kernarg_segment_align: 8
    .kernarg_segment_size: 32
    .language:       OpenCL C
    .language_version:
      - 2
      - 0
    .max_flat_workgroup_size: 256
    .name:           _Z30block_run_length_decode_kernelIiiLj256ELj4ELj4EEvPKT_PKT0_PS0_PS3_
    .private_segment_fixed_size: 0
    .sgpr_count:     20
    .sgpr_spill_count: 0
    .symbol:         _Z30block_run_length_decode_kernelIiiLj256ELj4ELj4EEvPKT_PKT0_PS0_PS3_.kd
    .uniform_work_group_size: 1
    .uses_dynamic_stack: false
    .vgpr_count:     24
    .vgpr_spill_count: 0
    .wavefront_size: 64
amdhsa.target:   amdgcn-amd-amdhsa--gfx90a
amdhsa.version:
  - 1
  - 2
...

	.end_amdgpu_metadata
